;; amdgpu-corpus repo=ROCm/rocFFT kind=compiled arch=gfx1201 opt=O3
	.text
	.amdgcn_target "amdgcn-amd-amdhsa--gfx1201"
	.amdhsa_code_object_version 6
	.protected	bluestein_single_fwd_len715_dim1_dp_op_CI_CI ; -- Begin function bluestein_single_fwd_len715_dim1_dp_op_CI_CI
	.globl	bluestein_single_fwd_len715_dim1_dp_op_CI_CI
	.p2align	8
	.type	bluestein_single_fwd_len715_dim1_dp_op_CI_CI,@function
bluestein_single_fwd_len715_dim1_dp_op_CI_CI: ; @bluestein_single_fwd_len715_dim1_dp_op_CI_CI
; %bb.0:
	s_load_b128 s[8:11], s[0:1], 0x28
	v_mul_u32_u24_e32 v1, 0x3f1, v0
	s_mov_b32 s2, exec_lo
	s_delay_alu instid0(VALU_DEP_1) | instskip(NEXT) | instid1(VALU_DEP_1)
	v_lshrrev_b32_e32 v1, 16, v1
	v_mad_co_u64_u32 v[3:4], null, ttmp9, 3, v[1:2]
	v_mov_b32_e32 v4, 0
                                        ; kill: def $vgpr2 killed $sgpr0 killed $exec
	s_wait_kmcnt 0x0
	s_delay_alu instid0(VALU_DEP_1)
	v_cmpx_gt_u64_e64 s[8:9], v[3:4]
	s_cbranch_execz .LBB0_23
; %bb.1:
	v_mul_hi_u32 v2, 0xaaaaaaab, v3
	v_mul_lo_u16 v1, 0x41, v1
	s_clause 0x1
	s_load_b64 s[8:9], s[0:1], 0x0
	s_load_b64 s[12:13], s[0:1], 0x38
	s_delay_alu instid0(VALU_DEP_1) | instskip(SKIP_1) | instid1(VALU_DEP_4)
	v_sub_nc_u16 v0, v0, v1
	v_mov_b32_e32 v1, v3
	v_lshrrev_b32_e32 v2, 1, v2
	s_delay_alu instid0(VALU_DEP_3) | instskip(NEXT) | instid1(VALU_DEP_2)
	v_cmp_gt_u16_e32 vcc_lo, 55, v0
	v_lshl_add_u32 v2, v2, 1, v2
	scratch_store_b64 off, v[1:2], off offset:40 ; 8-byte Folded Spill
	v_sub_nc_u32_e32 v1, v3, v2
	v_and_b32_e32 v2, 0xffff, v0
	s_delay_alu instid0(VALU_DEP_2) | instskip(NEXT) | instid1(VALU_DEP_1)
	v_mul_u32_u24_e32 v185, 0x2cb, v1
	v_lshlrev_b32_e32 v0, 4, v185
	s_clause 0x1
	scratch_store_b32 off, v2, off
	scratch_store_b32 off, v0, off offset:4
	s_and_saveexec_b32 s3, vcc_lo
	s_cbranch_execz .LBB0_3
; %bb.2:
	s_clause 0x1
	scratch_load_b64 v[0:1], off, off offset:40
	scratch_load_b32 v133, off, off
	s_load_b64 s[4:5], s[0:1], 0x18
	s_wait_kmcnt 0x0
	s_load_b128 s[4:7], s[4:5], 0x0
	s_wait_loadcnt 0x0
	s_wait_kmcnt 0x0
	v_mad_co_u64_u32 v[16:17], null, s4, v133, 0
	v_dual_mov_b32 v3, v0 :: v_dual_lshlrev_b32 v132, 4, v133
	s_delay_alu instid0(VALU_DEP_2) | instskip(NEXT) | instid1(VALU_DEP_2)
	v_mov_b32_e32 v2, v17
	v_mad_co_u64_u32 v[0:1], null, s6, v3, 0
	s_delay_alu instid0(VALU_DEP_1) | instskip(NEXT) | instid1(VALU_DEP_1)
	v_mad_co_u64_u32 v[3:4], null, s7, v3, v[1:2]
	v_mad_co_u64_u32 v[4:5], null, s5, v133, v[2:3]
	v_mov_b32_e32 v1, v3
	s_mul_u64 s[4:5], s[4:5], 0x370
	s_delay_alu instid0(VALU_DEP_1) | instskip(NEXT) | instid1(VALU_DEP_3)
	v_lshlrev_b64_e32 v[18:19], 4, v[0:1]
	v_mov_b32_e32 v17, v4
	s_clause 0x3
	global_load_b128 v[0:3], v132, s[8:9]
	global_load_b128 v[4:7], v132, s[8:9] offset:880
	global_load_b128 v[8:11], v132, s[8:9] offset:1760
	;; [unrolled: 1-line block ×3, first 2 shown]
	v_add_co_u32 v26, s2, s10, v18
	v_lshlrev_b64_e32 v[24:25], 4, v[16:17]
	v_add_co_ci_u32_e64 v27, s2, s11, v19, s2
	s_clause 0x1
	global_load_b128 v[16:19], v132, s[8:9] offset:3520
	global_load_b128 v[20:23], v132, s[8:9] offset:4400
	v_add_co_u32 v40, s2, v26, v24
	s_wait_alu 0xf1ff
	v_add_co_ci_u32_e64 v41, s2, v27, v25, s2
	s_clause 0x1
	global_load_b128 v[24:27], v132, s[8:9] offset:5280
	global_load_b128 v[28:31], v132, s[8:9] offset:6160
	s_wait_alu 0xfffe
	v_add_co_u32 v44, s2, v40, s4
	s_wait_alu 0xf1ff
	v_add_co_ci_u32_e64 v45, s2, s5, v41, s2
	s_clause 0x1
	global_load_b128 v[32:35], v132, s[8:9] offset:7040
	global_load_b128 v[36:39], v132, s[8:9] offset:7920
	v_add_co_u32 v48, s2, v44, s4
	s_wait_alu 0xf1ff
	v_add_co_ci_u32_e64 v49, s2, s5, v45, s2
	s_clause 0x1
	global_load_b128 v[40:43], v[40:41], off
	global_load_b128 v[44:47], v[44:45], off
	v_add_co_u32 v52, s2, v48, s4
	s_wait_alu 0xf1ff
	v_add_co_ci_u32_e64 v53, s2, s5, v49, s2
	s_delay_alu instid0(VALU_DEP_2) | instskip(SKIP_1) | instid1(VALU_DEP_2)
	v_add_co_u32 v56, s2, v52, s4
	s_wait_alu 0xf1ff
	v_add_co_ci_u32_e64 v57, s2, s5, v53, s2
	s_clause 0x1
	global_load_b128 v[48:51], v[48:49], off
	global_load_b128 v[52:55], v[52:53], off
	v_add_co_u32 v60, s2, v56, s4
	s_wait_alu 0xf1ff
	v_add_co_ci_u32_e64 v61, s2, s5, v57, s2
	global_load_b128 v[56:59], v[56:57], off
	v_add_co_u32 v64, s2, v60, s4
	s_wait_alu 0xf1ff
	v_add_co_ci_u32_e64 v65, s2, s5, v61, s2
	;; [unrolled: 4-line block ×8, first 2 shown]
	s_clause 0x1
	global_load_b128 v[84:87], v132, s[8:9] offset:8800
	global_load_b128 v[88:91], v132, s[8:9] offset:9680
	global_load_b128 v[92:95], v[92:93], off
	global_load_b128 v[96:99], v132, s[8:9] offset:10560
	global_load_b128 v[100:103], v[100:101], off
	s_wait_loadcnt 0xf
	v_mul_f64_e32 v[104:105], v[42:43], v[2:3]
	v_mul_f64_e32 v[2:3], v[40:41], v[2:3]
	s_wait_loadcnt 0xe
	v_mul_f64_e32 v[106:107], v[46:47], v[6:7]
	v_mul_f64_e32 v[6:7], v[44:45], v[6:7]
	;; [unrolled: 3-line block ×10, first 2 shown]
	v_fma_f64 v[38:39], v[40:41], v[0:1], v[104:105]
	v_fma_f64 v[40:41], v[42:43], v[0:1], -v[2:3]
	v_fma_f64 v[0:1], v[44:45], v[4:5], v[106:107]
	v_fma_f64 v[2:3], v[46:47], v[4:5], -v[6:7]
	s_wait_loadcnt 0x4
	v_mul_f64_e32 v[126:127], v[82:83], v[86:87]
	v_mul_f64_e32 v[86:87], v[80:81], v[86:87]
	s_wait_loadcnt 0x2
	v_mul_f64_e32 v[128:129], v[94:95], v[90:91]
	v_mul_f64_e32 v[90:91], v[92:93], v[90:91]
	;; [unrolled: 3-line block ×3, first 2 shown]
	v_fma_f64 v[4:5], v[48:49], v[8:9], v[108:109]
	v_fma_f64 v[6:7], v[50:51], v[8:9], -v[10:11]
	v_fma_f64 v[8:9], v[52:53], v[12:13], v[110:111]
	v_fma_f64 v[10:11], v[54:55], v[12:13], -v[14:15]
	;; [unrolled: 2-line block ×8, first 2 shown]
	v_lshlrev_b32_e32 v37, 4, v185
	v_fma_f64 v[42:43], v[80:81], v[84:85], v[126:127]
	v_fma_f64 v[44:45], v[82:83], v[84:85], -v[86:87]
	v_fma_f64 v[46:47], v[92:93], v[88:89], v[128:129]
	v_fma_f64 v[48:49], v[94:95], v[88:89], -v[90:91]
	;; [unrolled: 2-line block ×3, first 2 shown]
	v_lshl_add_u32 v36, v133, 4, v37
	v_add_nc_u32_e32 v37, v37, v132
	ds_store_b128 v36, v[38:41]
	ds_store_b128 v37, v[0:3] offset:880
	ds_store_b128 v37, v[4:7] offset:1760
	;; [unrolled: 1-line block ×12, first 2 shown]
.LBB0_3:
	s_or_b32 exec_lo, exec_lo, s3
	global_wb scope:SCOPE_SE
	s_wait_storecnt_dscnt 0x0
	s_wait_kmcnt 0x0
	s_barrier_signal -1
	s_barrier_wait -1
	global_inv scope:SCOPE_SE
                                        ; implicit-def: $vgpr16_vgpr17
                                        ; implicit-def: $vgpr32_vgpr33
                                        ; implicit-def: $vgpr36_vgpr37
                                        ; implicit-def: $vgpr44_vgpr45
                                        ; implicit-def: $vgpr60_vgpr61
                                        ; implicit-def: $vgpr40_vgpr41
                                        ; implicit-def: $vgpr28_vgpr29
                                        ; implicit-def: $vgpr24_vgpr25
                                        ; implicit-def: $vgpr20_vgpr21
                                        ; implicit-def: $vgpr12_vgpr13
                                        ; implicit-def: $vgpr8_vgpr9
                                        ; implicit-def: $vgpr4_vgpr5
                                        ; implicit-def: $vgpr0_vgpr1
	s_and_saveexec_b32 s2, vcc_lo
	s_cbranch_execz .LBB0_5
; %bb.4:
	scratch_load_b32 v0, off, off           ; 4-byte Folded Reload
	s_wait_loadcnt 0x0
	v_lshlrev_b32_e32 v0, 4, v0
	s_delay_alu instid0(VALU_DEP_1)
	v_lshl_add_u32 v0, v185, 4, v0
	ds_load_b128 v[16:19], v0
	ds_load_b128 v[32:35], v0 offset:880
	ds_load_b128 v[36:39], v0 offset:1760
	;; [unrolled: 1-line block ×12, first 2 shown]
.LBB0_5:
	s_wait_alu 0xfffe
	s_or_b32 exec_lo, exec_lo, s2
	s_wait_dscnt 0x0
	v_add_f64_e64 v[173:174], v[34:35], -v[2:3]
	s_mov_b32 s6, 0x4267c47c
	s_mov_b32 s16, 0x66966769
	;; [unrolled: 1-line block ×4, first 2 shown]
	v_add_f64_e64 v[96:97], v[32:33], -v[0:1]
	v_add_f64_e32 v[94:95], v[32:33], v[0:1]
	v_add_f64_e64 v[154:155], v[38:39], -v[6:7]
	s_mov_b32 s14, 0x42a4c3d2
	s_mov_b32 s20, 0xe00740e9
	;; [unrolled: 1-line block ×8, first 2 shown]
	v_add_f64_e32 v[171:172], v[34:35], v[2:3]
	v_add_f64_e64 v[64:65], v[36:37], -v[4:5]
	v_add_f64_e32 v[68:69], v[36:37], v[4:5]
	v_add_f64_e64 v[181:182], v[46:47], -v[10:11]
	s_mov_b32 s10, 0x1ea71119
	s_mov_b32 s22, 0x2ef20147
	s_mov_b32 s30, 0x93053d00
	s_mov_b32 s11, 0x3fe22d96
	s_mov_b32 s23, 0xbfedeba7
	s_mov_b32 s31, 0xbfef11f4
	s_mov_b32 s27, 0x3fedeba7
	s_mov_b32 s26, s22
	v_add_f64_e32 v[175:176], v[38:39], v[6:7]
	v_add_f64_e64 v[102:103], v[44:45], -v[8:9]
	v_add_f64_e32 v[132:133], v[44:45], v[8:9]
	v_add_f64_e64 v[82:83], v[62:63], -v[14:15]
	s_mov_b32 s24, 0xb2365da1
	s_mov_b32 s25, 0xbfd6b1d8
	;; [unrolled: 1-line block ×3, first 2 shown]
	s_wait_alu 0xfffe
	s_mov_b32 s34, s6
	v_add_f64_e32 v[183:184], v[46:47], v[10:11]
	v_add_f64_e32 v[70:71], v[60:61], v[12:13]
	v_mul_f64_e32 v[156:157], s[6:7], v[173:174]
	v_mul_f64_e32 v[167:168], s[16:17], v[173:174]
	;; [unrolled: 1-line block ×3, first 2 shown]
	v_add_f64_e64 v[146:147], v[42:43], -v[22:23]
	s_mov_b32 s38, 0x24c2f84
	v_mul_f64_e32 v[158:159], s[6:7], v[96:97]
	v_mul_f64_e32 v[165:166], s[14:15], v[96:97]
	;; [unrolled: 1-line block ×5, first 2 shown]
	s_mov_b32 s39, 0x3fe5384d
	s_mov_b32 s43, 0xbfe5384d
	;; [unrolled: 1-line block ×3, first 2 shown]
	v_add_f64_e64 v[177:178], v[30:31], -v[26:27]
	s_mov_b32 s40, 0xd0032e0c
	s_mov_b32 s41, 0xbfe7f3cc
	s_clause 0x1
	s_load_b64 s[4:5], s[0:1], 0x20
	s_load_b64 s[2:3], s[0:1], 0x8
	v_mul_f64_e32 v[76:77], s[14:15], v[64:65]
	v_mul_f64_e32 v[88:89], s[22:23], v[64:65]
	;; [unrolled: 1-line block ×6, first 2 shown]
	v_add_f64_e64 v[66:67], v[60:61], -v[12:13]
	v_mul_f64_e32 v[122:123], s[28:29], v[181:182]
	v_add_f64_e32 v[150:151], v[62:63], v[14:15]
	v_add_f64_e64 v[72:73], v[40:41], -v[20:21]
	s_mov_b32 s37, 0x3fefc445
	s_mov_b32 s36, s16
	v_mul_f64_e32 v[116:117], s[16:17], v[102:103]
	v_mul_f64_e32 v[142:143], s[28:29], v[102:103]
	;; [unrolled: 1-line block ×6, first 2 shown]
	v_add_f64_e32 v[161:162], v[42:43], v[22:23]
	v_fma_f64 v[48:49], v[94:95], s[20:21], v[156:157]
	v_fma_f64 v[56:57], v[94:95], s[18:19], v[167:168]
	;; [unrolled: 1-line block ×3, first 2 shown]
	v_mul_f64_e32 v[128:129], s[42:43], v[146:147]
	v_mul_f64_e32 v[140:141], s[14:15], v[146:147]
	v_fma_f64 v[50:51], v[171:172], s[20:21], -v[158:159]
	v_fma_f64 v[54:55], v[171:172], s[10:11], -v[165:166]
	v_fma_f64 v[78:79], v[68:69], s[10:11], v[74:75]
	v_fma_f64 v[100:101], v[68:69], s[30:31], v[84:85]
	;; [unrolled: 1-line block ×3, first 2 shown]
	v_mul_f64_e32 v[136:137], s[36:37], v[146:147]
	v_fma_f64 v[80:81], v[175:176], s[10:11], -v[76:77]
	v_fma_f64 v[92:93], v[175:176], s[24:25], -v[88:89]
	v_fma_f64 v[112:113], v[132:133], s[18:19], v[106:107]
	v_fma_f64 v[186:187], v[132:133], s[24:25], v[148:149]
	v_fma_f64 v[58:59], v[171:172], s[18:19], -v[169:170]
	v_fma_f64 v[108:109], v[175:176], s[30:31], -v[98:99]
	v_mul_f64_e32 v[110:111], s[22:23], v[66:67]
	v_mul_f64_e32 v[118:119], s[38:39], v[66:67]
	;; [unrolled: 1-line block ×3, first 2 shown]
	v_fma_f64 v[130:131], v[132:133], s[30:31], v[122:123]
	v_mul_f64_e32 v[134:135], s[42:43], v[72:73]
	v_mul_f64_e32 v[138:139], s[36:37], v[72:73]
	v_fma_f64 v[124:125], v[183:184], s[18:19], -v[116:117]
	v_fma_f64 v[179:180], v[183:184], s[30:31], -v[142:143]
	v_fma_f64 v[190:191], v[70:71], s[24:25], v[104:105]
	v_fma_f64 v[198:199], v[70:71], s[20:21], v[120:121]
	v_fma_f64 v[188:189], v[183:184], s[24:25], -v[152:153]
	v_mul_f64_e32 v[144:145], s[14:15], v[72:73]
	v_fma_f64 v[194:195], v[70:71], s[40:41], v[114:115]
	v_add_f64_e32 v[48:49], v[16:17], v[48:49]
	v_add_f64_e32 v[56:57], v[16:17], v[56:57]
	;; [unrolled: 1-line block ×6, first 2 shown]
	v_fma_f64 v[192:193], v[150:151], s[24:25], -v[110:111]
	v_fma_f64 v[196:197], v[150:151], s[40:41], -v[118:119]
	;; [unrolled: 1-line block ×5, first 2 shown]
	v_add_f64_e32 v[48:49], v[78:79], v[48:49]
	v_add_f64_e32 v[56:57], v[100:101], v[56:57]
	;; [unrolled: 1-line block ×4, first 2 shown]
	v_add_f64_e64 v[78:79], v[28:29], -v[24:25]
	v_add_f64_e32 v[50:51], v[80:81], v[50:51]
	v_add_f64_e32 v[80:81], v[40:41], v[20:21]
	;; [unrolled: 1-line block ×3, first 2 shown]
	v_mul_f64_e32 v[92:93], s[28:29], v[177:178]
	v_add_f64_e32 v[58:59], v[108:109], v[58:59]
	v_mul_f64_e32 v[108:109], s[34:35], v[177:178]
	v_add_f64_e32 v[48:49], v[112:113], v[48:49]
	v_add_f64_e32 v[56:57], v[186:187], v[56:57]
	v_add_f64_e32 v[52:53], v[130:131], v[52:53]
	v_mul_f64_e32 v[100:101], s[28:29], v[78:79]
	v_add_f64_e32 v[50:51], v[124:125], v[50:51]
	v_mul_f64_e32 v[124:125], s[42:43], v[177:178]
	v_fma_f64 v[186:187], v[80:81], s[40:41], v[128:129]
	v_fma_f64 v[206:207], v[80:81], s[10:11], v[140:141]
	v_add_f64_e32 v[54:55], v[179:180], v[54:55]
	v_add_f64_e32 v[179:180], v[30:31], v[26:27]
	v_mul_f64_e32 v[112:113], s[34:35], v[78:79]
	v_mul_f64_e32 v[130:131], s[42:43], v[78:79]
	v_fma_f64 v[202:203], v[80:81], s[18:19], v[136:137]
	v_add_f64_e32 v[58:59], v[188:189], v[58:59]
	v_fma_f64 v[188:189], v[161:162], s[40:41], -v[134:135]
	v_add_f64_e32 v[48:49], v[190:191], v[48:49]
	v_add_f64_e32 v[56:57], v[198:199], v[56:57]
	v_fma_f64 v[190:191], v[90:91], s[30:31], v[92:93]
	v_add_f64_e32 v[52:53], v[194:195], v[52:53]
	v_fma_f64 v[194:195], v[90:91], s[20:21], v[108:109]
	;; [unrolled: 2-line block ×3, first 2 shown]
	v_add_f64_e32 v[54:55], v[196:197], v[54:55]
	v_fma_f64 v[192:193], v[179:180], s[30:31], -v[100:101]
	v_fma_f64 v[196:197], v[179:180], s[20:21], -v[112:113]
	v_add_f64_e32 v[58:59], v[200:201], v[58:59]
	v_fma_f64 v[200:201], v[179:180], s[40:41], -v[130:131]
	v_add_f64_e32 v[48:49], v[186:187], v[48:49]
	v_add_f64_e32 v[186:187], v[206:207], v[56:57]
	;; [unrolled: 1-line block ×8, first 2 shown]
	scratch_load_b32 v186, off, off         ; 4-byte Folded Reload
	v_add_f64_e32 v[52:53], v[194:195], v[52:53]
	v_add_f64_e32 v[58:59], v[192:193], v[50:51]
	;; [unrolled: 1-line block ×4, first 2 shown]
	s_wait_loadcnt 0x0
	v_mul_lo_u16 v186, v186, 13
	scratch_store_b32 off, v186, off offset:48 ; 4-byte Folded Spill
	global_wb scope:SCOPE_SE
	s_wait_storecnt 0x0
	s_wait_kmcnt 0x0
	s_barrier_signal -1
	s_barrier_wait -1
	global_inv scope:SCOPE_SE
	s_and_saveexec_b32 s33, vcc_lo
	s_cbranch_execz .LBB0_7
; %bb.6:
	v_add_f64_e32 v[34:35], v[18:19], v[34:35]
	v_add_f64_e32 v[32:33], v[16:17], v[32:33]
	v_mul_f64_e32 v[186:187], s[20:21], v[171:172]
	v_mul_f64_e32 v[188:189], s[10:11], v[94:95]
	;; [unrolled: 1-line block ×6, first 2 shown]
	s_mov_b32 s45, 0x3fcea1e5
	s_mov_b32 s44, s28
	;; [unrolled: 1-line block ×4, first 2 shown]
	v_mul_f64_e32 v[196:197], s[10:11], v[175:176]
	v_mul_f64_e32 v[198:199], s[24:25], v[68:69]
	;; [unrolled: 1-line block ×20, first 2 shown]
	v_add_f64_e32 v[34:35], v[34:35], v[38:39]
	v_add_f64_e32 v[32:33], v[32:33], v[36:37]
	v_mul_f64_e32 v[36:37], s[30:31], v[171:172]
	v_mul_f64_e32 v[38:39], s[28:29], v[173:174]
	v_add_f64_e64 v[163:164], v[188:189], -v[163:164]
	v_add_f64_e64 v[167:168], v[192:193], -v[167:168]
	v_add_f64_e32 v[158:159], v[158:159], v[186:187]
	s_wait_alu 0xfffe
	v_fma_f64 v[250:251], v[102:103], s[0:1], v[224:225]
	v_mul_f64_e32 v[186:187], s[18:19], v[80:81]
	v_mul_f64_e32 v[188:189], s[18:19], v[161:162]
	v_add_f64_e32 v[76:77], v[76:77], v[196:197]
	v_add_f64_e64 v[86:87], v[198:199], -v[86:87]
	v_add_f64_e32 v[88:89], v[88:89], v[200:201]
	v_add_f64_e32 v[98:99], v[98:99], v[204:205]
	v_mul_f64_e32 v[196:197], s[16:17], v[82:83]
	v_add_f64_e32 v[142:143], v[142:143], v[212:213]
	v_mul_f64_e32 v[212:213], s[30:31], v[150:151]
	v_add_f64_e32 v[152:153], v[152:153], v[216:217]
	v_fma_f64 v[248:249], v[68:69], s[20:21], v[220:221]
	v_fma_f64 v[220:221], v[68:69], s[20:21], -v[220:221]
	v_add_f64_e32 v[116:117], v[116:117], v[208:209]
	v_mul_f64_e32 v[216:217], s[10:11], v[161:162]
	v_mul_f64_e32 v[200:201], s[20:21], v[90:91]
	v_add_f64_e64 v[74:75], v[194:195], -v[74:75]
	v_add_f64_e64 v[84:85], v[202:203], -v[84:85]
	v_mul_f64_e32 v[202:203], s[10:11], v[150:151]
	v_add_f64_e64 v[122:123], v[210:211], -v[122:123]
	v_add_f64_e64 v[106:107], v[206:207], -v[106:107]
	v_mul_f64_e32 v[206:207], s[24:25], v[161:162]
	v_add_f64_e32 v[110:111], v[110:111], v[226:227]
	v_add_f64_e64 v[148:149], v[214:215], -v[148:149]
	v_add_f64_e64 v[104:105], v[222:223], -v[104:105]
	v_mul_f64_e32 v[198:199], s[20:21], v[179:180]
	v_mul_f64_e32 v[194:195], s[40:41], v[90:91]
	;; [unrolled: 1-line block ×4, first 2 shown]
	v_add_f64_e32 v[34:35], v[34:35], v[46:47]
	v_add_f64_e32 v[32:33], v[32:33], v[44:45]
	v_mul_f64_e32 v[44:45], s[40:41], v[171:172]
	v_mul_f64_e32 v[46:47], s[42:43], v[173:174]
	;; [unrolled: 1-line block ×3, first 2 shown]
	v_fma_f64 v[234:235], v[96:97], s[44:45], v[36:37]
	v_fma_f64 v[236:237], v[94:95], s[30:31], v[38:39]
	;; [unrolled: 1-line block ×3, first 2 shown]
	v_fma_f64 v[38:39], v[94:95], s[30:31], -v[38:39]
	v_add_f64_e32 v[167:168], v[16:17], v[167:168]
	v_add_f64_e32 v[163:164], v[16:17], v[163:164]
	v_add_f64_e64 v[136:137], v[186:187], -v[136:137]
	v_add_f64_e32 v[138:139], v[138:139], v[188:189]
	v_mul_f64_e32 v[214:215], s[30:31], v[179:180]
	v_mul_f64_e32 v[204:205], s[30:31], v[90:91]
	v_add_f64_e64 v[108:109], v[200:201], -v[108:109]
	v_add_f64_e32 v[34:35], v[34:35], v[62:63]
	v_add_f64_e32 v[32:33], v[32:33], v[60:61]
	v_mul_f64_e32 v[60:61], s[24:25], v[171:172]
	v_mul_f64_e32 v[62:63], s[20:21], v[94:95]
	;; [unrolled: 1-line block ×3, first 2 shown]
	v_fma_f64 v[238:239], v[96:97], s[38:39], v[44:45]
	v_fma_f64 v[44:45], v[96:97], s[42:43], v[44:45]
	;; [unrolled: 1-line block ×3, first 2 shown]
	v_fma_f64 v[46:47], v[94:95], s[40:41], -v[46:47]
	v_fma_f64 v[244:245], v[94:95], s[24:25], v[173:174]
	v_fma_f64 v[94:95], v[94:95], s[24:25], -v[173:174]
	v_add_f64_e32 v[234:235], v[18:19], v[234:235]
	v_add_f64_e32 v[236:237], v[16:17], v[236:237]
	;; [unrolled: 1-line block ×5, first 2 shown]
	v_mul_f64_e32 v[173:174], s[40:41], v[161:162]
	v_fma_f64 v[163:164], v[70:71], s[18:19], v[196:197]
	v_add_f64_e32 v[84:85], v[84:85], v[167:168]
	v_add_f64_e32 v[100:101], v[100:101], v[214:215]
	v_add_f64_e64 v[92:93], v[204:205], -v[92:93]
	v_add_f64_e32 v[34:35], v[34:35], v[42:43]
	v_add_f64_e32 v[32:33], v[32:33], v[40:41]
	v_mul_f64_e32 v[40:41], s[20:21], v[175:176]
	v_mul_f64_e32 v[42:43], s[42:43], v[181:182]
	;; [unrolled: 1-line block ×4, first 2 shown]
	v_fma_f64 v[242:243], v[96:97], s[26:27], v[60:61]
	v_fma_f64 v[60:61], v[96:97], s[22:23], v[60:61]
	v_add_f64_e32 v[96:97], v[169:170], v[190:191]
	v_add_f64_e32 v[165:166], v[165:166], v[171:172]
	v_add_f64_e64 v[62:63], v[62:63], -v[156:157]
	v_add_f64_e32 v[44:45], v[18:19], v[44:45]
	v_fma_f64 v[190:191], v[102:103], s[38:39], v[218:219]
	v_fma_f64 v[218:219], v[102:103], s[42:43], v[218:219]
	v_add_f64_e32 v[238:239], v[18:19], v[238:239]
	v_add_f64_e32 v[240:241], v[16:17], v[240:241]
	;; [unrolled: 1-line block ×5, first 2 shown]
	v_mul_f64_e32 v[156:157], s[40:41], v[70:71]
	v_mul_f64_e32 v[169:170], s[20:21], v[150:151]
	v_add_f64_e32 v[38:39], v[220:221], v[38:39]
	v_mul_f64_e32 v[220:221], s[0:1], v[82:83]
	v_mul_f64_e32 v[82:83], s[44:45], v[82:83]
	v_add_f64_e32 v[236:237], v[248:249], v[236:237]
	;; [unrolled: 3-line block ×3, first 2 shown]
	v_add_f64_e32 v[84:85], v[148:149], v[84:85]
	v_add_f64_e32 v[30:31], v[34:35], v[30:31]
	;; [unrolled: 1-line block ×3, first 2 shown]
	v_fma_f64 v[192:193], v[64:65], s[6:7], v[40:41]
	v_fma_f64 v[246:247], v[132:133], s[40:41], v[42:43]
	;; [unrolled: 1-line block ×3, first 2 shown]
	v_fma_f64 v[42:43], v[132:133], s[40:41], -v[42:43]
	v_add_f64_e32 v[242:243], v[18:19], v[242:243]
	v_add_f64_e32 v[60:61], v[18:19], v[60:61]
	;; [unrolled: 1-line block ×6, first 2 shown]
	v_fma_f64 v[62:63], v[64:65], s[16:17], v[228:229]
	v_fma_f64 v[158:159], v[132:133], s[10:11], v[230:231]
	v_mul_f64_e32 v[32:33], s[40:41], v[150:151]
	v_mul_f64_e32 v[34:35], s[20:21], v[70:71]
	;; [unrolled: 1-line block ×3, first 2 shown]
	v_add_f64_e64 v[114:115], v[156:157], -v[114:115]
	v_add_f64_e32 v[126:127], v[126:127], v[169:170]
	v_fma_f64 v[156:157], v[70:71], s[30:31], v[82:83]
	v_add_f64_e64 v[128:129], v[171:172], -v[128:129]
	v_add_f64_e32 v[26:27], v[30:31], v[26:27]
	v_fma_f64 v[30:31], v[102:103], s[14:15], v[224:225]
	v_fma_f64 v[224:225], v[64:65], s[36:37], v[228:229]
	v_add_f64_e32 v[24:25], v[28:29], v[24:25]
	v_fma_f64 v[28:29], v[68:69], s[18:19], v[232:233]
	v_fma_f64 v[228:229], v[132:133], s[10:11], -v[230:231]
	v_fma_f64 v[230:231], v[68:69], s[18:19], -v[232:233]
	v_fma_f64 v[232:233], v[102:103], s[6:7], v[183:184]
	v_fma_f64 v[102:103], v[102:103], s[34:35], v[183:184]
	;; [unrolled: 1-line block ×5, first 2 shown]
	v_fma_f64 v[132:133], v[132:133], s[20:21], -v[181:182]
	v_fma_f64 v[181:182], v[68:69], s[40:41], v[154:155]
	v_fma_f64 v[68:69], v[68:69], s[40:41], -v[154:155]
	v_add_f64_e32 v[192:193], v[192:193], v[234:235]
	v_add_f64_e32 v[36:37], v[40:41], v[36:37]
	;; [unrolled: 1-line block ×3, first 2 shown]
	v_mul_f64_e32 v[238:239], s[20:21], v[161:162]
	v_add_f64_e32 v[88:89], v[88:89], v[165:166]
	v_add_f64_e32 v[18:19], v[76:77], v[18:19]
	v_fma_f64 v[76:77], v[66:67], s[44:45], v[212:213]
	v_mul_f64_e32 v[40:41], s[24:25], v[179:180]
	v_mul_f64_e32 v[161:162], s[30:31], v[161:162]
	v_add_f64_e32 v[16:17], v[74:75], v[16:17]
	v_fma_f64 v[74:75], v[66:67], s[28:29], v[212:213]
	v_add_f64_e64 v[34:35], v[34:35], -v[120:121]
	v_add_f64_e32 v[32:33], v[118:119], v[32:33]
	v_fma_f64 v[118:119], v[70:71], s[10:11], v[220:221]
	v_fma_f64 v[120:121], v[70:71], s[10:11], -v[220:221]
	v_add_f64_e32 v[38:39], v[42:43], v[38:39]
	v_mul_f64_e32 v[154:155], s[10:11], v[80:81]
	v_add_f64_e32 v[165:166], v[246:247], v[236:237]
	v_mul_f64_e32 v[234:235], s[36:37], v[177:178]
	v_mul_f64_e32 v[179:180], s[10:11], v[179:180]
	v_add_f64_e32 v[22:23], v[26:27], v[22:23]
	v_fma_f64 v[26:27], v[66:67], s[0:1], v[202:203]
	v_add_f64_e32 v[44:45], v[224:225], v[44:45]
	v_mul_f64_e32 v[224:225], s[34:35], v[146:147]
	v_mul_f64_e32 v[146:147], s[44:45], v[146:147]
	v_add_f64_e32 v[20:21], v[24:25], v[20:21]
	v_fma_f64 v[24:25], v[66:67], s[14:15], v[202:203]
	v_add_f64_e32 v[28:29], v[28:29], v[240:241]
	v_add_f64_e32 v[46:47], v[230:231], v[46:47]
	v_mul_f64_e32 v[240:241], s[22:23], v[177:178]
	v_add_f64_e32 v[60:61], v[64:65], v[60:61]
	v_add_f64_e32 v[64:65], v[98:99], v[96:97]
	v_fma_f64 v[98:99], v[66:67], s[36:37], v[150:151]
	v_add_f64_e32 v[96:97], v[181:182], v[244:245]
	v_add_f64_e32 v[68:69], v[68:69], v[94:95]
	;; [unrolled: 1-line block ×3, first 2 shown]
	v_fma_f64 v[66:67], v[66:67], s[16:17], v[150:151]
	v_fma_f64 v[150:151], v[70:71], s[18:19], -v[196:197]
	v_fma_f64 v[70:71], v[70:71], s[30:31], -v[82:83]
	v_add_f64_e32 v[82:83], v[190:191], v[192:193]
	v_add_f64_e32 v[36:37], v[218:219], v[36:37]
	v_add_f64_e32 v[42:43], v[250:251], v[62:63]
	v_add_f64_e32 v[62:63], v[142:143], v[88:89]
	v_add_f64_e32 v[18:19], v[116:117], v[18:19]
	v_fma_f64 v[116:117], v[72:73], s[34:35], v[238:239]
	v_add_f64_e32 v[16:17], v[106:107], v[16:17]
	v_add_f64_e32 v[142:143], v[144:145], v[216:217]
	;; [unrolled: 1-line block ×3, first 2 shown]
	v_mul_f64_e32 v[177:178], s[0:1], v[177:178]
	v_add_f64_e64 v[140:141], v[154:155], -v[140:141]
	v_add_f64_e32 v[14:15], v[22:23], v[14:15]
	v_fma_f64 v[22:23], v[80:81], s[24:25], v[248:249]
	v_add_f64_e32 v[30:31], v[30:31], v[44:45]
	v_fma_f64 v[106:107], v[80:81], s[20:21], v[224:225]
	v_fma_f64 v[144:145], v[80:81], s[30:31], v[146:147]
	v_add_f64_e32 v[12:13], v[20:21], v[12:13]
	v_fma_f64 v[20:21], v[72:73], s[26:27], v[206:207]
	v_add_f64_e32 v[28:29], v[158:159], v[28:29]
	v_add_f64_e32 v[46:47], v[228:229], v[46:47]
	v_fma_f64 v[84:85], v[90:91], s[24:25], -v[240:241]
	v_add_f64_e32 v[44:45], v[102:103], v[60:61]
	v_add_f64_e32 v[60:61], v[152:153], v[64:65]
	v_add_f64_e32 v[64:65], v[122:123], v[86:87]
	v_add_f64_e32 v[88:89], v[175:176], v[96:97]
	v_add_f64_e32 v[68:69], v[132:133], v[68:69]
	v_add_f64_e32 v[86:87], v[232:233], v[94:95]
	v_fma_f64 v[94:95], v[72:73], s[22:23], v[206:207]
	v_fma_f64 v[96:97], v[80:81], s[24:25], -v[248:249]
	v_fma_f64 v[102:103], v[72:73], s[6:7], v[238:239]
	v_fma_f64 v[122:123], v[80:81], s[20:21], -v[224:225]
	v_fma_f64 v[132:133], v[72:73], s[28:29], v[161:162]
	v_fma_f64 v[72:73], v[72:73], s[44:45], v[161:162]
	v_fma_f64 v[80:81], v[80:81], s[30:31], -v[146:147]
	v_add_f64_e32 v[24:25], v[24:25], v[82:83]
	v_add_f64_e32 v[26:27], v[26:27], v[36:37]
	;; [unrolled: 1-line block ×6, first 2 shown]
	v_fma_f64 v[74:75], v[78:79], s[26:27], v[40:41]
	v_fma_f64 v[40:41], v[78:79], s[22:23], v[40:41]
	v_add_f64_e32 v[82:83], v[118:119], v[165:166]
	v_add_f64_e32 v[34:35], v[140:141], v[34:35]
	v_fma_f64 v[110:111], v[90:91], s[10:11], v[177:178]
	v_add_f64_e32 v[10:11], v[14:15], v[10:11]
	v_fma_f64 v[14:15], v[78:79], s[16:17], v[208:209]
	v_add_f64_e32 v[30:31], v[76:77], v[30:31]
	v_fma_f64 v[76:77], v[90:91], s[24:25], v[240:241]
	v_add_f64_e32 v[8:9], v[12:13], v[8:9]
	v_add_f64_e32 v[12:13], v[104:105], v[16:17]
	;; [unrolled: 1-line block ×11, first 2 shown]
	v_fma_f64 v[68:69], v[78:79], s[36:37], v[208:209]
	v_fma_f64 v[70:71], v[90:91], s[18:19], -v[234:235]
	v_add_f64_e32 v[88:89], v[130:131], v[210:211]
	v_add_f64_e64 v[98:99], v[194:195], -v[124:125]
	v_fma_f64 v[16:17], v[90:91], s[18:19], v[234:235]
	v_fma_f64 v[86:87], v[78:79], s[14:15], v[179:180]
	;; [unrolled: 1-line block ×3, first 2 shown]
	v_add_f64_e32 v[20:21], v[20:21], v[24:25]
	v_add_f64_e32 v[24:25], v[94:95], v[26:27]
	;; [unrolled: 1-line block ×5, first 2 shown]
	v_fma_f64 v[90:91], v[90:91], s[10:11], -v[177:178]
	v_add_f64_e32 v[22:23], v[22:23], v[82:83]
	v_add_f64_e32 v[30:31], v[116:117], v[30:31]
	;; [unrolled: 1-line block ×21, first 2 shown]
	scratch_load_b32 v40, off, off offset:48 ; 4-byte Folded Reload
	v_add_f64_e32 v[30:31], v[104:105], v[32:33]
	v_add_f64_e32 v[36:37], v[92:93], v[82:83]
	;; [unrolled: 1-line block ×13, first 2 shown]
	s_wait_loadcnt 0x0
	v_and_b32_e32 v40, 0xffff, v40
	s_delay_alu instid0(VALU_DEP_1)
	v_add_lshl_u32 v40, v185, v40, 4
	ds_store_b128 v40, v[48:51] offset:160
	ds_store_b128 v40, v[52:55] offset:176
	;; [unrolled: 1-line block ×10, first 2 shown]
	ds_store_b128 v40, v[0:3]
	ds_store_b128 v40, v[36:39] offset:16
	ds_store_b128 v40, v[56:59] offset:192
.LBB0_7:
	s_or_b32 exec_lo, exec_lo, s33
	scratch_load_b32 v0, off, off           ; 4-byte Folded Reload
	global_wb scope:SCOPE_SE
	s_wait_loadcnt_dscnt 0x0
	s_barrier_signal -1
	s_barrier_wait -1
	global_inv scope:SCOPE_SE
                                        ; implicit-def: $vgpr100_vgpr101
                                        ; implicit-def: $vgpr104_vgpr105
	v_add_lshl_u32 v255, v185, v0, 4
	v_cmp_gt_u16_e64 s0, 13, v0
	ds_load_b128 v[64:67], v255
	ds_load_b128 v[60:63], v255 offset:1040
	ds_load_b128 v[84:87], v255 offset:2288
	;; [unrolled: 1-line block ×9, first 2 shown]
	s_and_saveexec_b32 s1, s0
	s_cbranch_execz .LBB0_9
; %bb.8:
	ds_load_b128 v[48:51], v255 offset:2080
	ds_load_b128 v[52:55], v255 offset:4368
	;; [unrolled: 1-line block ×5, first 2 shown]
.LBB0_9:
	s_wait_alu 0xfffe
	s_or_b32 exec_lo, exec_lo, s1
	scratch_load_b32 v6, off, off           ; 4-byte Folded Reload
	s_mov_b32 s10, 0x134454ff
	s_mov_b32 s11, 0x3fee6f0e
	;; [unrolled: 1-line block ×3, first 2 shown]
	s_wait_alu 0xfffe
	s_mov_b32 s16, s10
	s_mov_b32 s6, 0x4755a5e
	;; [unrolled: 1-line block ×4, first 2 shown]
	s_wait_alu 0xfffe
	s_mov_b32 s14, s6
	s_wait_loadcnt 0x0
	v_and_b32_e32 v0, 0xff, v6
	v_add_nc_u16 v1, v6, 0x41
	v_add_nc_u16 v2, v6, 0x82
	s_delay_alu instid0(VALU_DEP_3) | instskip(NEXT) | instid1(VALU_DEP_3)
	v_mul_lo_u16 v0, 0x4f, v0
	v_and_b32_e32 v3, 0xff, v1
	s_delay_alu instid0(VALU_DEP_3) | instskip(NEXT) | instid1(VALU_DEP_3)
	v_and_b32_e32 v4, 0xff, v2
	v_lshrrev_b16 v0, 10, v0
	s_delay_alu instid0(VALU_DEP_3) | instskip(NEXT) | instid1(VALU_DEP_3)
	v_mul_lo_u16 v3, 0x4f, v3
	v_mul_lo_u16 v4, 0x4f, v4
	s_delay_alu instid0(VALU_DEP_3) | instskip(NEXT) | instid1(VALU_DEP_3)
	v_mul_lo_u16 v5, v0, 13
	v_lshrrev_b16 v109, 10, v3
	s_delay_alu instid0(VALU_DEP_3) | instskip(SKIP_1) | instid1(VALU_DEP_4)
	v_lshrrev_b16 v3, 10, v4
	v_and_b32_e32 v0, 0xffff, v0
	v_sub_nc_u16 v4, v6, v5
	s_delay_alu instid0(VALU_DEP_4) | instskip(NEXT) | instid1(VALU_DEP_4)
	v_mul_lo_u16 v5, v109, 13
	v_mul_lo_u16 v3, v3, 13
	s_delay_alu instid0(VALU_DEP_4) | instskip(NEXT) | instid1(VALU_DEP_4)
	v_mul_u32_u24_e32 v0, 0x41, v0
	v_and_b32_e32 v110, 0xff, v4
	s_delay_alu instid0(VALU_DEP_4) | instskip(NEXT) | instid1(VALU_DEP_4)
	v_sub_nc_u16 v1, v1, v5
	v_sub_nc_u16 v108, v2, v3
	s_delay_alu instid0(VALU_DEP_3) | instskip(NEXT) | instid1(VALU_DEP_3)
	v_lshlrev_b32_e32 v2, 6, v110
	v_and_b32_e32 v111, 0xff, v1
	s_delay_alu instid0(VALU_DEP_3)
	v_lshlrev_b16 v1, 2, v108
	v_add_nc_u32_e32 v0, v0, v110
	s_clause 0x3
	global_load_b128 v[32:35], v2, s[2:3] offset:16
	global_load_b128 v[40:43], v2, s[2:3]
	global_load_b128 v[28:31], v2, s[2:3] offset:48
	global_load_b128 v[36:39], v2, s[2:3] offset:32
	v_lshlrev_b32_e32 v2, 6, v111
	v_and_b32_e32 v1, 0xfc, v1
	s_clause 0x3
	global_load_b128 v[161:164], v2, s[2:3] offset:16
	global_load_b128 v[18:21], v2, s[2:3] offset:48
	global_load_b128 v[24:27], v2, s[2:3] offset:32
	global_load_b128 v[44:47], v2, s[2:3]
	v_lshlrev_b32_e32 v1, 4, v1
	s_clause 0x3
	global_load_b128 v[6:9], v1, s[2:3] offset:16
	global_load_b128 v[2:5], v1, s[2:3] offset:32
	global_load_b128 v[14:17], v1, s[2:3]
	global_load_b128 v[10:13], v1, s[2:3] offset:48
	s_wait_loadcnt_dscnt 0xb05
	v_mul_f64_e32 v[114:115], v[90:91], v[34:35]
	s_wait_loadcnt 0xa
	v_mul_f64_e32 v[112:113], v[86:87], v[42:43]
	s_wait_loadcnt_dscnt 0x901
	v_mul_f64_e32 v[118:119], v[98:99], v[30:31]
	s_wait_loadcnt 0x8
	v_mul_f64_e32 v[116:117], v[94:95], v[38:39]
	v_mul_f64_e32 v[120:121], v[88:89], v[34:35]
	;; [unrolled: 1-line block ×3, first 2 shown]
	s_wait_loadcnt 0x7
	v_mul_f64_e32 v[128:129], v[74:75], v[163:164]
	v_mul_f64_e32 v[136:137], v[72:73], v[163:164]
	s_wait_loadcnt 0x5
	v_mul_f64_e32 v[130:131], v[78:79], v[26:27]
	v_mul_f64_e32 v[138:139], v[76:77], v[26:27]
	s_wait_loadcnt 0x4
	v_mul_f64_e32 v[140:141], v[68:69], v[46:47]
	s_wait_dscnt 0x0
	v_mul_f64_e32 v[142:143], v[80:81], v[20:21]
	s_wait_loadcnt 0x3
	v_mul_f64_e32 v[144:145], v[58:59], v[8:9]
	s_wait_loadcnt 0x2
	v_mul_f64_e32 v[146:147], v[102:103], v[4:5]
	v_mul_f64_e32 v[152:153], v[56:57], v[8:9]
	;; [unrolled: 1-line block ×7, first 2 shown]
	s_wait_loadcnt 0x1
	v_mul_f64_e32 v[148:149], v[54:55], v[16:17]
	s_wait_loadcnt 0x0
	v_mul_f64_e32 v[150:151], v[106:107], v[12:13]
	v_mul_f64_e32 v[156:157], v[52:53], v[16:17]
	;; [unrolled: 1-line block ×3, first 2 shown]
	s_clause 0x3
	scratch_store_b128 off, v[161:164], off offset:68
	scratch_store_b128 off, v[2:5], off offset:96
	;; [unrolled: 1-line block ×4, first 2 shown]
	v_fma_f64 v[88:89], v[88:89], v[32:33], -v[114:115]
	v_fma_f64 v[84:85], v[84:85], v[40:41], -v[112:113]
	;; [unrolled: 1-line block ×4, first 2 shown]
	v_fma_f64 v[90:91], v[90:91], v[32:33], v[120:121]
	v_fma_f64 v[94:95], v[94:95], v[36:37], v[122:123]
	v_fma_f64 v[112:113], v[72:73], v[161:162], -v[128:129]
	v_fma_f64 v[116:117], v[74:75], v[161:162], v[136:137]
	v_fma_f64 v[114:115], v[76:77], v[24:25], -v[130:131]
	v_fma_f64 v[118:119], v[78:79], v[24:25], v[138:139]
	v_fma_f64 v[70:71], v[70:71], v[44:45], v[140:141]
	;; [unrolled: 1-line block ×3, first 2 shown]
	v_fma_f64 v[72:73], v[56:57], v[6:7], -v[144:145]
	v_fma_f64 v[56:57], v[100:101], v[2:3], -v[146:147]
	v_fma_f64 v[76:77], v[58:59], v[6:7], v[152:153]
	v_fma_f64 v[58:59], v[102:103], v[2:3], v[154:155]
	v_fma_f64 v[86:87], v[86:87], v[40:41], v[124:125]
	v_fma_f64 v[98:99], v[98:99], v[28:29], v[126:127]
	v_fma_f64 v[68:69], v[68:69], v[44:45], -v[132:133]
	v_fma_f64 v[80:81], v[80:81], v[18:19], -v[134:135]
	;; [unrolled: 1-line block ×4, first 2 shown]
	v_fma_f64 v[78:79], v[54:55], v[14:15], v[156:157]
	v_fma_f64 v[54:55], v[106:107], v[10:11], v[158:159]
	v_add_f64_e32 v[126:127], v[64:65], v[84:85]
	v_add_f64_e32 v[102:103], v[84:85], v[96:97]
	;; [unrolled: 1-line block ×3, first 2 shown]
	v_add_f64_e64 v[138:139], v[84:85], -v[88:89]
	v_add_f64_e32 v[104:105], v[90:91], v[94:95]
	v_add_f64_e64 v[134:135], v[90:91], -v[94:95]
	v_add_f64_e64 v[142:143], v[96:97], -v[92:93]
	v_add_f64_e32 v[120:121], v[112:113], v[114:115]
	v_add_f64_e32 v[124:125], v[116:117], v[118:119]
	;; [unrolled: 1-line block ×4, first 2 shown]
	v_add_f64_e64 v[146:147], v[88:89], -v[84:85]
	v_add_f64_e32 v[132:133], v[72:73], v[56:57]
	v_add_f64_e64 v[148:149], v[92:93], -v[96:97]
	v_add_f64_e32 v[140:141], v[76:77], v[58:59]
	v_add_f64_e32 v[150:151], v[66:67], v[86:87]
	;; [unrolled: 1-line block ×3, first 2 shown]
	v_add_f64_e64 v[130:131], v[86:87], -v[98:99]
	v_add_f64_e32 v[122:123], v[68:69], v[80:81]
	v_add_f64_e64 v[84:85], v[84:85], -v[96:97]
	v_add_f64_e32 v[136:137], v[74:75], v[52:53]
	;; [unrolled: 2-line block ×4, first 2 shown]
	v_add_f64_e64 v[163:164], v[70:71], -v[82:83]
	v_add_f64_e64 v[165:166], v[116:117], -v[118:119]
	;; [unrolled: 1-line block ×15, first 2 shown]
	v_fma_f64 v[100:101], v[100:101], -0.5, v[64:65]
	v_fma_f64 v[64:65], v[102:103], -0.5, v[64:65]
	;; [unrolled: 1-line block ×3, first 2 shown]
	v_add_f64_e64 v[102:103], v[114:115], -v[80:81]
	v_add_f64_e64 v[196:197], v[54:55], -v[58:59]
	v_fma_f64 v[120:121], v[120:121], -0.5, v[60:61]
	v_fma_f64 v[124:125], v[124:125], -0.5, v[62:63]
	v_add_f64_e64 v[175:176], v[70:71], -v[116:117]
	v_fma_f64 v[62:63], v[128:129], -0.5, v[62:63]
	v_add_f64_e64 v[128:129], v[78:79], -v[54:55]
	;; [unrolled: 2-line block ×3, first 2 shown]
	v_fma_f64 v[140:141], v[140:141], -0.5, v[50:51]
	v_add_f64_e32 v[88:89], v[126:127], v[88:89]
	v_fma_f64 v[66:67], v[106:107], -0.5, v[66:67]
	v_add_f64_e64 v[106:107], v[112:113], -v[114:115]
	v_fma_f64 v[60:61], v[122:123], -0.5, v[60:61]
	v_add_f64_e32 v[126:127], v[138:139], v[142:143]
	v_fma_f64 v[136:137], v[136:137], -0.5, v[48:49]
	v_add_f64_e32 v[138:139], v[146:147], v[148:149]
	;; [unrolled: 2-line block ×3, first 2 shown]
	v_add_f64_e32 v[112:113], v[161:162], v[112:113]
	v_add_f64_e32 v[116:117], v[171:172], v[116:117]
	v_add_f64_e64 v[122:123], v[82:83], -v[118:119]
	v_add_f64_e64 v[190:191], v[72:73], -v[74:75]
	;; [unrolled: 1-line block ×6, first 2 shown]
	v_add_f64_e32 v[154:155], v[154:155], v[156:157]
	v_add_f64_e32 v[156:157], v[86:87], v[158:159]
	;; [unrolled: 1-line block ×4, first 2 shown]
	v_fma_f64 v[142:143], v[130:131], s[10:11], v[100:101]
	v_fma_f64 v[100:101], v[130:131], s[16:17], v[100:101]
	;; [unrolled: 1-line block ×9, first 2 shown]
	v_add_f64_e32 v[102:103], v[173:174], v[102:103]
	v_fma_f64 v[206:207], v[128:129], s[10:11], v[132:133]
	v_fma_f64 v[132:133], v[128:129], s[16:17], v[132:133]
	;; [unrolled: 1-line block ×13, first 2 shown]
	v_add_f64_e32 v[173:174], v[194:195], v[196:197]
	v_fma_f64 v[120:121], v[163:164], s[16:17], v[120:121]
	v_fma_f64 v[60:61], v[165:166], s[10:11], v[60:61]
	v_add_f64_e32 v[86:87], v[88:89], v[92:93]
	v_add_f64_e32 v[88:89], v[90:91], v[94:95]
	;; [unrolled: 1-line block ×8, first 2 shown]
	v_fma_f64 v[94:95], v[134:135], s[6:7], v[142:143]
	s_wait_alu 0xfffe
	v_fma_f64 v[100:101], v[134:135], s[14:15], v[100:101]
	v_fma_f64 v[112:113], v[130:131], s[6:7], v[146:147]
	;; [unrolled: 1-line block ×18, first 2 shown]
	s_mov_b32 s6, 0x372fe950
	s_mov_b32 s7, 0x3fd3c6ef
	v_fma_f64 v[128:129], v[128:129], s[14:15], v[136:137]
	v_fma_f64 v[120:121], v[165:166], s[14:15], v[120:121]
	;; [unrolled: 1-line block ×5, first 2 shown]
	v_add_f64_e32 v[60:61], v[86:87], v[96:97]
	v_add_f64_e32 v[62:63], v[88:89], v[98:99]
	;; [unrolled: 1-line block ×4, first 2 shown]
	s_wait_alu 0xfffe
	v_fma_f64 v[84:85], v[126:127], s[6:7], v[94:95]
	v_fma_f64 v[88:89], v[126:127], s[6:7], v[100:101]
	;; [unrolled: 1-line block ×11, first 2 shown]
	scratch_store_b128 off, v[10:13], off offset:128 ; 16-byte Folded Spill
	v_fma_f64 v[94:95], v[156:157], s[6:7], v[118:119]
	v_fma_f64 v[118:119], v[122:123], s[6:7], v[148:149]
	;; [unrolled: 1-line block ×12, first 2 shown]
	scratch_store_b128 off, v[3:6], off offset:24 ; 16-byte Folded Spill
	v_fma_f64 v[3:4], v[175:176], s[6:7], v[144:145]
	scratch_store_b128 off, v[18:21], off offset:52 ; 16-byte Folded Spill
	s_load_b128 s[4:7], s[4:5], 0x0
	scratch_store_b128 off, v[1:4], off offset:8 ; 16-byte Folded Spill
	v_and_b32_e32 v1, 0xffff, v109
	v_add_lshl_u32 v2, v185, v0, 4
	global_wb scope:SCOPE_SE
	s_wait_storecnt 0x0
	s_wait_kmcnt 0x0
	s_barrier_signal -1
	s_barrier_wait -1
	v_mul_u32_u24_e32 v1, 0x41, v1
	global_inv scope:SCOPE_SE
	ds_store_b128 v2, v[60:63]
	ds_store_b128 v2, v[84:87] offset:208
	ds_store_b128 v2, v[92:95] offset:416
	ds_store_b128 v2, v[104:107] offset:624
	ds_store_b128 v2, v[88:91] offset:832
	v_add_nc_u32_e32 v0, v1, v111
	s_delay_alu instid0(VALU_DEP_1)
	v_add_lshl_u32 v1, v185, v0, 4
	v_and_b32_e32 v0, 0xff, v108
	s_clause 0x1
	scratch_store_b32 off, v2, off offset:92
	scratch_store_b32 off, v0, off offset:84
	ds_store_b128 v1, v[80:83]
	ds_store_b128 v1, v[112:115] offset:208
	ds_store_b128 v1, v[120:123] offset:416
	;; [unrolled: 1-line block ×3, first 2 shown]
	scratch_store_b32 off, v1, off offset:88 ; 4-byte Folded Spill
	ds_store_b128 v1, v[116:119] offset:832
	s_and_saveexec_b32 s1, s0
	s_cbranch_execz .LBB0_11
; %bb.10:
	s_clause 0x1
	scratch_load_b32 v0, off, off offset:84
	scratch_load_b128 v[1:4], off, off offset:8
	v_add_f64_e32 v[50:51], v[50:51], v[78:79]
	v_add_f64_e32 v[48:49], v[48:49], v[74:75]
	s_delay_alu instid0(VALU_DEP_2) | instskip(NEXT) | instid1(VALU_DEP_2)
	v_add_f64_e32 v[50:51], v[50:51], v[76:77]
	v_add_f64_e32 v[48:49], v[48:49], v[72:73]
	s_delay_alu instid0(VALU_DEP_2) | instskip(NEXT) | instid1(VALU_DEP_2)
	;; [unrolled: 3-line block ×3, first 2 shown]
	v_add_f64_e32 v[50:51], v[50:51], v[54:55]
	v_add_f64_e32 v[48:49], v[48:49], v[52:53]
	s_wait_loadcnt 0x1
	v_add_lshl_u32 v0, v185, v0, 4
	ds_store_b128 v0, v[96:99] offset:10816
	s_wait_loadcnt 0x0
	ds_store_b128 v0, v[1:4] offset:11024
	ds_store_b128 v0, v[48:51] offset:10400
	;; [unrolled: 1-line block ×3, first 2 shown]
	scratch_load_b128 v[1:4], off, off offset:24 ; 16-byte Folded Reload
	s_wait_loadcnt 0x0
	ds_store_b128 v0, v[1:4] offset:11232
.LBB0_11:
	s_wait_alu 0xfffe
	s_or_b32 exec_lo, exec_lo, s1
	scratch_load_b32 v160, off, off         ; 4-byte Folded Reload
	global_wb scope:SCOPE_SE
	s_wait_storecnt 0x0
	s_wait_loadcnt_dscnt 0x0
	s_barrier_signal -1
	s_barrier_wait -1
	global_inv scope:SCOPE_SE
	s_mov_b32 s26, 0xf8bb580b
	s_mov_b32 s20, 0x43842ef
	;; [unrolled: 1-line block ×19, first 2 shown]
	s_wait_alu 0xfffe
	s_mov_b32 s30, s28
	s_mov_b32 s35, 0x3fefac9e
	;; [unrolled: 1-line block ×5, first 2 shown]
	v_mad_co_u64_u32 v[88:89], null, 0xa0, v160, s[2:3]
	s_mov_b32 s2, 0x9bcd5057
	s_mov_b32 s3, 0xbfeeb42a
	s_clause 0x3
	global_load_b128 v[56:59], v[88:89], off offset:832
	global_load_b128 v[48:51], v[88:89], off offset:976
	;; [unrolled: 1-line block ×4, first 2 shown]
	ds_load_b128 v[72:75], v255 offset:1040
	ds_load_b128 v[76:79], v255 offset:10400
	ds_load_b128 v[104:107], v255
	s_wait_loadcnt_dscnt 0x302
	v_mul_f64_e32 v[64:65], v[74:75], v[58:59]
	v_mul_f64_e32 v[80:81], v[72:73], v[58:59]
	s_wait_loadcnt_dscnt 0x201
	v_mul_f64_e32 v[82:83], v[76:77], v[50:51]
	v_mul_f64_e32 v[84:85], v[78:79], v[50:51]
	s_delay_alu instid0(VALU_DEP_4) | instskip(NEXT) | instid1(VALU_DEP_4)
	v_fma_f64 v[64:65], v[72:73], v[56:57], -v[64:65]
	v_fma_f64 v[116:117], v[74:75], v[56:57], v[80:81]
	ds_load_b128 v[72:75], v255 offset:2080
	v_fma_f64 v[144:145], v[78:79], v[48:49], v[82:83]
	ds_load_b128 v[80:83], v255 offset:3120
	v_fma_f64 v[146:147], v[76:77], v[48:49], -v[84:85]
	s_wait_loadcnt_dscnt 0x101
	v_mul_f64_e32 v[76:77], v[74:75], v[62:63]
	v_add_f64_e32 v[189:190], v[106:107], v[116:117]
	v_add_f64_e32 v[140:141], v[116:117], v[144:145]
	s_delay_alu instid0(VALU_DEP_4) | instskip(NEXT) | instid1(VALU_DEP_4)
	v_add_f64_e32 v[120:121], v[64:65], v[146:147]
	v_fma_f64 v[148:149], v[72:73], v[60:61], -v[76:77]
	v_mul_f64_e32 v[72:73], v[72:73], v[62:63]
	s_delay_alu instid0(VALU_DEP_1) | instskip(SKIP_4) | instid1(VALU_DEP_1)
	v_fma_f64 v[150:151], v[74:75], v[60:61], v[72:73]
	ds_load_b128 v[72:75], v255 offset:9360
	ds_load_b128 v[90:93], v255 offset:8320
	s_wait_loadcnt_dscnt 0x1
	v_mul_f64_e32 v[76:77], v[72:73], v[54:55]
	v_fma_f64 v[152:153], v[74:75], v[52:53], v[76:77]
	v_mul_f64_e32 v[74:75], v[74:75], v[54:55]
	s_delay_alu instid0(VALU_DEP_2) | instskip(NEXT) | instid1(VALU_DEP_2)
	v_add_f64_e32 v[201:202], v[150:151], v[152:153]
	v_fma_f64 v[154:155], v[72:73], v[52:53], -v[74:75]
	s_clause 0x1
	global_load_b128 v[76:79], v[88:89], off offset:864
	global_load_b128 v[72:75], v[88:89], off offset:880
	v_add_f64_e32 v[197:198], v[148:149], v[154:155]
	s_wait_loadcnt 0x1
	v_mul_f64_e32 v[84:85], v[82:83], v[78:79]
	s_delay_alu instid0(VALU_DEP_1) | instskip(SKIP_1) | instid1(VALU_DEP_1)
	v_fma_f64 v[161:162], v[80:81], v[76:77], -v[84:85]
	v_mul_f64_e32 v[80:81], v[80:81], v[78:79]
	v_fma_f64 v[163:164], v[82:83], v[76:77], v[80:81]
	s_clause 0x1
	global_load_b128 v[84:87], v[88:89], off offset:944
	global_load_b128 v[80:83], v[88:89], off offset:928
	s_wait_loadcnt_dscnt 0x100
	v_mul_f64_e32 v[94:95], v[90:91], v[86:87]
	s_delay_alu instid0(VALU_DEP_1) | instskip(SKIP_1) | instid1(VALU_DEP_2)
	v_fma_f64 v[165:166], v[92:93], v[84:85], v[94:95]
	v_mul_f64_e32 v[92:93], v[92:93], v[86:87]
	v_add_f64_e32 v[211:212], v[163:164], v[165:166]
	s_delay_alu instid0(VALU_DEP_2)
	v_fma_f64 v[167:168], v[90:91], v[84:85], -v[92:93]
	ds_load_b128 v[90:93], v255 offset:4160
	ds_load_b128 v[108:111], v255 offset:5200
	s_wait_dscnt 0x1
	v_mul_f64_e32 v[94:95], v[92:93], v[74:75]
	v_add_f64_e32 v[205:206], v[161:162], v[167:168]
	v_add_f64_e64 v[209:210], v[161:162], -v[167:168]
	s_delay_alu instid0(VALU_DEP_3) | instskip(SKIP_1) | instid1(VALU_DEP_3)
	v_fma_f64 v[169:170], v[90:91], v[72:73], -v[94:95]
	v_mul_f64_e32 v[90:91], v[90:91], v[74:75]
	v_mul_f64_e32 v[213:214], s[20:21], v[209:210]
	s_wait_alu 0xfffe
	v_mul_f64_e32 v[245:246], s[30:31], v[209:210]
	s_delay_alu instid0(VALU_DEP_3) | instskip(SKIP_4) | instid1(VALU_DEP_1)
	v_fma_f64 v[171:172], v[92:93], v[72:73], v[90:91]
	ds_load_b128 v[90:93], v255 offset:7280
	ds_load_b128 v[112:115], v255 offset:6240
	s_wait_loadcnt_dscnt 0x1
	v_mul_f64_e32 v[94:95], v[92:93], v[82:83]
	v_fma_f64 v[173:174], v[90:91], v[80:81], -v[94:95]
	v_mul_f64_e32 v[90:91], v[90:91], v[82:83]
	s_delay_alu instid0(VALU_DEP_2) | instskip(NEXT) | instid1(VALU_DEP_2)
	v_add_f64_e32 v[217:218], v[169:170], v[173:174]
	v_fma_f64 v[175:176], v[92:93], v[80:81], v[90:91]
	s_clause 0x1
	global_load_b128 v[92:95], v[88:89], off offset:896
	global_load_b128 v[88:91], v[88:89], off offset:912
	v_add_f64_e64 v[221:222], v[169:170], -v[173:174]
	v_add_f64_e64 v[215:216], v[171:172], -v[175:176]
	v_add_f64_e32 v[223:224], v[171:172], v[175:176]
	s_delay_alu instid0(VALU_DEP_3) | instskip(SKIP_1) | instid1(VALU_DEP_4)
	v_mul_f64_e32 v[225:226], s[24:25], v[221:222]
	v_mul_f64_e32 v[249:250], s[34:35], v[221:222]
	;; [unrolled: 1-line block ×6, first 2 shown]
	s_delay_alu instid0(VALU_DEP_2) | instskip(NEXT) | instid1(VALU_DEP_2)
	v_fma_f64 v[6:7], v[217:218], s[18:19], -v[4:5]
	v_fma_f64 v[18:19], v[217:218], s[2:3], -v[16:17]
	v_fma_f64 v[4:5], v[217:218], s[18:19], v[4:5]
	s_wait_loadcnt 0x1
	v_mul_f64_e32 v[118:119], v[110:111], v[94:95]
	s_delay_alu instid0(VALU_DEP_1) | instskip(SKIP_1) | instid1(VALU_DEP_1)
	v_fma_f64 v[177:178], v[108:109], v[92:93], -v[118:119]
	v_mul_f64_e32 v[108:109], v[108:109], v[94:95]
	v_fma_f64 v[179:180], v[110:111], v[92:93], v[108:109]
	s_wait_loadcnt_dscnt 0x0
	v_mul_f64_e32 v[108:109], v[114:115], v[90:91]
	s_delay_alu instid0(VALU_DEP_1) | instskip(SKIP_1) | instid1(VALU_DEP_2)
	v_fma_f64 v[181:182], v[112:113], v[88:89], -v[108:109]
	v_mul_f64_e32 v[108:109], v[112:113], v[90:91]
	v_add_f64_e32 v[229:230], v[177:178], v[181:182]
	s_delay_alu instid0(VALU_DEP_2) | instskip(SKIP_2) | instid1(VALU_DEP_3)
	v_fma_f64 v[183:184], v[114:115], v[88:89], v[108:109]
	v_add_f64_e64 v[108:109], v[116:117], -v[144:145]
	v_add_f64_e64 v[233:234], v[177:178], -v[181:182]
	;; [unrolled: 1-line block ×3, first 2 shown]
	s_delay_alu instid0(VALU_DEP_3)
	v_mul_f64_e32 v[110:111], s[26:27], v[108:109]
	v_mul_f64_e32 v[112:113], s[22:23], v[108:109]
	;; [unrolled: 1-line block ×5, first 2 shown]
	v_add_f64_e32 v[235:236], v[179:180], v[183:184]
	v_mul_f64_e32 v[237:238], s[28:29], v[233:234]
	v_mul_f64_e32 v[253:254], s[36:37], v[233:234]
	;; [unrolled: 1-line block ×3, first 2 shown]
	v_fma_f64 v[122:123], v[120:121], s[18:19], -v[110:111]
	v_fma_f64 v[110:111], v[120:121], s[18:19], v[110:111]
	v_fma_f64 v[124:125], v[120:121], s[14:15], -v[112:113]
	v_fma_f64 v[112:113], v[120:121], s[14:15], v[112:113]
	;; [unrolled: 2-line block ×5, first 2 shown]
	v_add_f64_e64 v[120:121], v[64:65], -v[146:147]
	v_add_f64_e32 v[64:65], v[104:105], v[64:65]
	v_mul_f64_e32 v[251:252], s[36:37], v[227:228]
	v_mul_f64_e32 v[8:9], s[24:25], v[227:228]
	v_add_f64_e32 v[191:192], v[104:105], v[122:123]
	v_add_f64_e32 v[110:111], v[104:105], v[110:111]
	;; [unrolled: 1-line block ×7, first 2 shown]
	v_mul_f64_e32 v[136:137], s[20:21], v[120:121]
	v_mul_f64_e32 v[132:133], s[26:27], v[120:121]
	;; [unrolled: 1-line block ×5, first 2 shown]
	v_fma_f64 v[10:11], v[229:230], s[10:11], -v[8:9]
	v_fma_f64 v[156:157], v[140:141], s[16:17], v[136:137]
	v_fma_f64 v[136:137], v[140:141], s[16:17], -v[136:137]
	v_fma_f64 v[142:143], v[140:141], s[14:15], v[134:135]
	v_fma_f64 v[158:159], v[140:141], s[10:11], v[138:139]
	v_fma_f64 v[138:139], v[140:141], s[10:11], -v[138:139]
	v_fma_f64 v[185:186], v[140:141], s[2:3], v[120:121]
	v_fma_f64 v[187:188], v[140:141], s[18:19], -v[132:133]
	v_fma_f64 v[134:135], v[140:141], s[14:15], -v[134:135]
	;; [unrolled: 1-line block ×3, first 2 shown]
	v_fma_f64 v[132:133], v[140:141], s[18:19], v[132:133]
	v_add_f64_e32 v[140:141], v[106:107], v[156:157]
	v_add_f64_e32 v[193:194], v[106:107], v[136:137]
	v_add_f64_e64 v[136:137], v[150:151], -v[152:153]
	v_add_f64_e32 v[124:125], v[106:107], v[142:143]
	v_add_f64_e32 v[142:143], v[106:107], v[158:159]
	;; [unrolled: 1-line block ×4, first 2 shown]
	v_add_f64_e64 v[138:139], v[148:149], -v[154:155]
	v_add_f64_e32 v[116:117], v[106:107], v[187:188]
	v_add_f64_e32 v[187:188], v[104:105], v[112:113]
	v_add_f64_e32 v[156:157], v[104:105], v[114:115]
	v_add_f64_e32 v[104:105], v[104:105], v[108:109]
	v_add_f64_e32 v[120:121], v[106:107], v[120:121]
	v_add_f64_e32 v[195:196], v[106:107], v[134:135]
	v_add_f64_e32 v[106:107], v[106:107], v[132:133]
	v_mul_f64_e32 v[199:200], s[22:23], v[136:137]
	v_mul_f64_e32 v[239:240], s[24:25], v[136:137]
	;; [unrolled: 1-line block ×4, first 2 shown]
	s_mov_b32 s23, 0x3fed1bb4
	v_mul_f64_e32 v[66:67], s[30:31], v[138:139]
	s_wait_alu 0xfffe
	v_mul_f64_e32 v[0:1], s[22:23], v[209:210]
	v_mul_f64_e32 v[20:21], s[22:23], v[227:228]
	v_fma_f64 v[108:109], v[197:198], s[14:15], v[199:200]
	v_fma_f64 v[114:115], v[201:202], s[10:11], v[241:242]
	s_delay_alu instid0(VALU_DEP_4) | instskip(NEXT) | instid1(VALU_DEP_4)
	v_fma_f64 v[2:3], v[211:212], s[14:15], v[0:1]
	v_fma_f64 v[22:23], v[229:230], s[14:15], -v[20:21]
	v_fma_f64 v[0:1], v[211:212], s[14:15], -v[0:1]
	v_add_f64_e32 v[108:109], v[108:109], v[110:111]
	v_fma_f64 v[110:111], v[201:202], s[14:15], -v[203:204]
	v_add_f64_e32 v[114:115], v[114:115], v[124:125]
	s_delay_alu instid0(VALU_DEP_2) | instskip(SKIP_1) | instid1(VALU_DEP_1)
	v_add_f64_e32 v[110:111], v[110:111], v[116:117]
	v_add_f64_e64 v[116:117], v[163:164], -v[165:166]
	v_mul_f64_e32 v[207:208], s[20:21], v[116:117]
	v_mul_f64_e32 v[243:244], s[30:31], v[116:117]
	;; [unrolled: 1-line block ×5, first 2 shown]
	v_fma_f64 v[112:113], v[205:206], s[16:17], v[207:208]
	s_delay_alu instid0(VALU_DEP_4) | instskip(NEXT) | instid1(VALU_DEP_4)
	v_fma_f64 v[70:71], v[205:206], s[14:15], -v[68:69]
	v_fma_f64 v[14:15], v[205:206], s[18:19], -v[12:13]
	v_fma_f64 v[12:13], v[205:206], s[18:19], v[12:13]
	s_delay_alu instid0(VALU_DEP_4) | instskip(SKIP_1) | instid1(VALU_DEP_1)
	v_add_f64_e32 v[108:109], v[112:113], v[108:109]
	v_fma_f64 v[112:113], v[211:212], s[16:17], -v[213:214]
	v_add_f64_e32 v[110:111], v[112:113], v[110:111]
	v_fma_f64 v[112:113], v[217:218], s[10:11], v[219:220]
	s_delay_alu instid0(VALU_DEP_1) | instskip(SKIP_1) | instid1(VALU_DEP_1)
	v_add_f64_e32 v[108:109], v[112:113], v[108:109]
	v_fma_f64 v[112:113], v[223:224], s[10:11], -v[225:226]
	v_add_f64_e32 v[110:111], v[112:113], v[110:111]
	v_fma_f64 v[112:113], v[229:230], s[2:3], v[231:232]
	s_delay_alu instid0(VALU_DEP_1) | instskip(SKIP_1) | instid1(VALU_DEP_1)
	v_add_f64_e32 v[108:109], v[112:113], v[108:109]
	v_fma_f64 v[112:113], v[235:236], s[2:3], -v[237:238]
	v_add_f64_e32 v[110:111], v[112:113], v[110:111]
	v_fma_f64 v[112:113], v[197:198], s[10:11], -v[239:240]
	s_delay_alu instid0(VALU_DEP_1) | instskip(SKIP_1) | instid1(VALU_DEP_1)
	v_add_f64_e32 v[112:113], v[112:113], v[122:123]
	v_fma_f64 v[122:123], v[205:206], s[2:3], -v[243:244]
	v_add_f64_e32 v[112:113], v[122:123], v[112:113]
	v_fma_f64 v[122:123], v[211:212], s[2:3], v[245:246]
	s_delay_alu instid0(VALU_DEP_1) | instskip(SKIP_1) | instid1(VALU_DEP_1)
	v_add_f64_e32 v[114:115], v[122:123], v[114:115]
	v_fma_f64 v[122:123], v[217:218], s[16:17], -v[247:248]
	v_add_f64_e32 v[112:113], v[122:123], v[112:113]
	v_fma_f64 v[122:123], v[223:224], s[16:17], v[249:250]
	;; [unrolled: 5-line block ×3, first 2 shown]
	s_delay_alu instid0(VALU_DEP_1) | instskip(SKIP_1) | instid1(VALU_DEP_1)
	v_add_f64_e32 v[114:115], v[122:123], v[114:115]
	v_mul_f64_e32 v[122:123], s[30:31], v[136:137]
	v_fma_f64 v[124:125], v[197:198], s[2:3], -v[122:123]
	s_delay_alu instid0(VALU_DEP_1) | instskip(SKIP_1) | instid1(VALU_DEP_2)
	v_add_f64_e32 v[124:125], v[124:125], v[126:127]
	v_fma_f64 v[126:127], v[201:202], s[2:3], v[66:67]
	v_add_f64_e32 v[70:71], v[70:71], v[124:125]
	s_delay_alu instid0(VALU_DEP_2) | instskip(SKIP_2) | instid1(VALU_DEP_4)
	v_add_f64_e32 v[126:127], v[126:127], v[140:141]
	v_fma_f64 v[140:141], v[205:206], s[10:11], -v[116:117]
	v_fma_f64 v[116:117], v[205:206], s[10:11], v[116:117]
	v_add_f64_e32 v[6:7], v[6:7], v[70:71]
	v_mul_f64_e32 v[70:71], s[26:27], v[221:222]
	v_add_f64_e32 v[2:3], v[2:3], v[126:127]
	s_delay_alu instid0(VALU_DEP_2) | instskip(NEXT) | instid1(VALU_DEP_1)
	v_fma_f64 v[124:125], v[223:224], s[18:19], v[70:71]
	v_add_f64_e32 v[2:3], v[124:125], v[2:3]
	v_add_f64_e32 v[124:125], v[10:11], v[6:7]
	v_mul_f64_e32 v[6:7], s[24:25], v[233:234]
	s_delay_alu instid0(VALU_DEP_1) | instskip(SKIP_1) | instid1(VALU_DEP_2)
	v_fma_f64 v[10:11], v[235:236], s[10:11], v[6:7]
	v_fma_f64 v[6:7], v[235:236], s[10:11], -v[6:7]
	v_add_f64_e32 v[126:127], v[10:11], v[2:3]
	v_mul_f64_e32 v[2:3], s[34:35], v[136:137]
	s_delay_alu instid0(VALU_DEP_1) | instskip(SKIP_1) | instid1(VALU_DEP_2)
	v_fma_f64 v[10:11], v[197:198], s[16:17], -v[2:3]
	v_fma_f64 v[2:3], v[197:198], s[16:17], v[2:3]
	v_add_f64_e32 v[10:11], v[10:11], v[128:129]
	v_mul_f64_e32 v[128:129], s[34:35], v[138:139]
	s_delay_alu instid0(VALU_DEP_3) | instskip(NEXT) | instid1(VALU_DEP_3)
	v_add_f64_e32 v[2:3], v[2:3], v[118:119]
	v_add_f64_e32 v[10:11], v[14:15], v[10:11]
	s_delay_alu instid0(VALU_DEP_3) | instskip(SKIP_1) | instid1(VALU_DEP_4)
	v_fma_f64 v[132:133], v[201:202], s[16:17], v[128:129]
	v_mul_f64_e32 v[14:15], s[26:27], v[209:210]
	v_add_f64_e32 v[2:3], v[12:13], v[2:3]
	s_delay_alu instid0(VALU_DEP_4) | instskip(NEXT) | instid1(VALU_DEP_4)
	v_add_f64_e32 v[10:11], v[18:19], v[10:11]
	v_add_f64_e32 v[132:133], v[132:133], v[142:143]
	s_delay_alu instid0(VALU_DEP_4) | instskip(SKIP_3) | instid1(VALU_DEP_4)
	v_fma_f64 v[134:135], v[211:212], s[18:19], v[14:15]
	v_mul_f64_e32 v[18:19], s[28:29], v[221:222]
	v_fma_f64 v[12:13], v[211:212], s[18:19], -v[14:15]
	v_fma_f64 v[14:15], v[217:218], s[2:3], v[16:17]
	v_add_f64_e32 v[132:133], v[134:135], v[132:133]
	s_delay_alu instid0(VALU_DEP_4) | instskip(NEXT) | instid1(VALU_DEP_3)
	v_fma_f64 v[134:135], v[223:224], s[2:3], v[18:19]
	v_add_f64_e32 v[2:3], v[14:15], v[2:3]
	v_fma_f64 v[14:15], v[223:224], s[2:3], -v[18:19]
	s_delay_alu instid0(VALU_DEP_3) | instskip(SKIP_2) | instid1(VALU_DEP_1)
	v_add_f64_e32 v[134:135], v[134:135], v[132:133]
	v_add_f64_e32 v[132:133], v[22:23], v[10:11]
	v_mul_f64_e32 v[10:11], s[22:23], v[233:234]
	v_fma_f64 v[22:23], v[235:236], s[14:15], v[10:11]
	v_fma_f64 v[10:11], v[235:236], s[14:15], -v[10:11]
	s_delay_alu instid0(VALU_DEP_2) | instskip(SKIP_1) | instid1(VALU_DEP_1)
	v_add_f64_e32 v[134:135], v[22:23], v[134:135]
	v_mul_f64_e32 v[22:23], s[36:37], v[136:137]
	v_fma_f64 v[136:137], v[197:198], s[18:19], -v[22:23]
	v_fma_f64 v[22:23], v[197:198], s[18:19], v[22:23]
	s_delay_alu instid0(VALU_DEP_2) | instskip(SKIP_1) | instid1(VALU_DEP_3)
	v_add_f64_e32 v[130:131], v[136:137], v[130:131]
	v_mul_f64_e32 v[136:137], s[36:37], v[138:139]
	v_add_f64_e32 v[22:23], v[22:23], v[104:105]
	s_delay_alu instid0(VALU_DEP_3) | instskip(NEXT) | instid1(VALU_DEP_3)
	v_add_f64_e32 v[130:131], v[140:141], v[130:131]
	v_fma_f64 v[138:139], v[201:202], s[18:19], v[136:137]
	v_fma_f64 v[104:105], v[201:202], s[18:19], -v[136:137]
	s_delay_alu instid0(VALU_DEP_4) | instskip(NEXT) | instid1(VALU_DEP_3)
	v_add_f64_e32 v[22:23], v[116:117], v[22:23]
	v_add_f64_e32 v[138:139], v[138:139], v[158:159]
	v_mul_f64_e32 v[158:159], s[24:25], v[209:210]
	v_mul_f64_e32 v[209:210], s[22:23], v[215:216]
	v_add_f64_e32 v[104:105], v[104:105], v[120:121]
	v_mul_f64_e32 v[215:216], s[22:23], v[221:222]
	v_mul_f64_e32 v[221:222], s[20:21], v[227:228]
	v_mul_f64_e32 v[227:228], s[20:21], v[233:234]
	v_fma_f64 v[116:117], v[211:212], s[10:11], -v[158:159]
	v_fma_f64 v[140:141], v[211:212], s[10:11], v[158:159]
	s_delay_alu instid0(VALU_DEP_3) | instskip(NEXT) | instid1(VALU_DEP_3)
	v_fma_f64 v[120:121], v[235:236], s[16:17], -v[227:228]
	v_add_f64_e32 v[104:105], v[116:117], v[104:105]
	v_fma_f64 v[116:117], v[217:218], s[14:15], v[209:210]
	s_delay_alu instid0(VALU_DEP_4) | instskip(SKIP_1) | instid1(VALU_DEP_3)
	v_add_f64_e32 v[138:139], v[140:141], v[138:139]
	v_fma_f64 v[140:141], v[217:218], s[14:15], -v[209:210]
	v_add_f64_e32 v[22:23], v[116:117], v[22:23]
	v_fma_f64 v[116:117], v[223:224], s[14:15], -v[215:216]
	s_delay_alu instid0(VALU_DEP_3) | instskip(SKIP_1) | instid1(VALU_DEP_3)
	v_add_f64_e32 v[130:131], v[140:141], v[130:131]
	v_fma_f64 v[140:141], v[223:224], s[14:15], v[215:216]
	v_add_f64_e32 v[104:105], v[116:117], v[104:105]
	v_fma_f64 v[116:117], v[229:230], s[16:17], v[221:222]
	s_delay_alu instid0(VALU_DEP_3) | instskip(SKIP_1) | instid1(VALU_DEP_3)
	v_add_f64_e32 v[138:139], v[140:141], v[138:139]
	v_fma_f64 v[140:141], v[229:230], s[16:17], -v[221:222]
	v_add_f64_e32 v[136:137], v[116:117], v[22:23]
	v_fma_f64 v[22:23], v[201:202], s[16:17], -v[128:129]
	s_delay_alu instid0(VALU_DEP_3) | instskip(SKIP_1) | instid1(VALU_DEP_3)
	v_add_f64_e32 v[140:141], v[140:141], v[130:131]
	v_fma_f64 v[130:131], v[235:236], s[16:17], v[227:228]
	v_add_f64_e32 v[22:23], v[22:23], v[185:186]
	s_delay_alu instid0(VALU_DEP_2) | instskip(SKIP_1) | instid1(VALU_DEP_3)
	v_add_f64_e32 v[142:143], v[130:131], v[138:139]
	v_add_f64_e32 v[138:139], v[120:121], v[104:105]
	v_add_f64_e32 v[12:13], v[12:13], v[22:23]
	s_delay_alu instid0(VALU_DEP_1) | instskip(SKIP_1) | instid1(VALU_DEP_2)
	v_add_f64_e32 v[12:13], v[14:15], v[12:13]
	v_fma_f64 v[14:15], v[229:230], s[14:15], v[20:21]
	v_add_f64_e32 v[130:131], v[10:11], v[12:13]
	s_delay_alu instid0(VALU_DEP_2) | instskip(SKIP_3) | instid1(VALU_DEP_3)
	v_add_f64_e32 v[128:129], v[14:15], v[2:3]
	v_fma_f64 v[2:3], v[197:198], s[2:3], v[122:123]
	v_fma_f64 v[10:11], v[201:202], s[2:3], -v[66:67]
	v_fma_f64 v[12:13], v[205:206], s[14:15], v[68:69]
	v_add_f64_e32 v[2:3], v[2:3], v[156:157]
	s_delay_alu instid0(VALU_DEP_3) | instskip(NEXT) | instid1(VALU_DEP_2)
	v_add_f64_e32 v[10:11], v[10:11], v[193:194]
	v_add_f64_e32 v[2:3], v[12:13], v[2:3]
	s_delay_alu instid0(VALU_DEP_2) | instskip(SKIP_1) | instid1(VALU_DEP_3)
	v_add_f64_e32 v[0:1], v[0:1], v[10:11]
	v_fma_f64 v[10:11], v[223:224], s[10:11], v[225:226]
	v_add_f64_e32 v[2:3], v[4:5], v[2:3]
	v_fma_f64 v[4:5], v[223:224], s[18:19], -v[70:71]
	s_delay_alu instid0(VALU_DEP_1) | instskip(SKIP_2) | instid1(VALU_DEP_3)
	v_add_f64_e32 v[0:1], v[4:5], v[0:1]
	v_fma_f64 v[4:5], v[229:230], s[10:11], v[8:9]
	v_fma_f64 v[8:9], v[217:218], s[10:11], -v[219:220]
	v_add_f64_e32 v[122:123], v[6:7], v[0:1]
	v_fma_f64 v[0:1], v[197:198], s[10:11], v[239:240]
	s_delay_alu instid0(VALU_DEP_4) | instskip(SKIP_4) | instid1(VALU_DEP_4)
	v_add_f64_e32 v[120:121], v[4:5], v[2:3]
	v_fma_f64 v[2:3], v[201:202], s[10:11], -v[241:242]
	v_fma_f64 v[4:5], v[205:206], s[2:3], v[243:244]
	v_fma_f64 v[6:7], v[235:236], s[18:19], -v[253:254]
	v_add_f64_e32 v[0:1], v[0:1], v[187:188]
	v_add_f64_e32 v[2:3], v[2:3], v[195:196]
	s_delay_alu instid0(VALU_DEP_2) | instskip(SKIP_1) | instid1(VALU_DEP_1)
	v_add_f64_e32 v[0:1], v[4:5], v[0:1]
	v_fma_f64 v[4:5], v[211:212], s[2:3], -v[245:246]
	v_add_f64_e32 v[2:3], v[4:5], v[2:3]
	v_fma_f64 v[4:5], v[217:218], s[16:17], v[247:248]
	s_delay_alu instid0(VALU_DEP_1) | instskip(SKIP_1) | instid1(VALU_DEP_1)
	v_add_f64_e32 v[0:1], v[4:5], v[0:1]
	v_fma_f64 v[4:5], v[223:224], s[16:17], -v[249:250]
	v_add_f64_e32 v[2:3], v[4:5], v[2:3]
	v_fma_f64 v[4:5], v[229:230], s[18:19], v[251:252]
	s_delay_alu instid0(VALU_DEP_2) | instskip(NEXT) | instid1(VALU_DEP_2)
	v_add_f64_e32 v[118:119], v[6:7], v[2:3]
	v_add_f64_e32 v[116:117], v[4:5], v[0:1]
	v_fma_f64 v[0:1], v[197:198], s[14:15], -v[199:200]
	v_fma_f64 v[4:5], v[205:206], s[16:17], -v[207:208]
	v_fma_f64 v[2:3], v[201:202], s[14:15], v[203:204]
	v_fma_f64 v[6:7], v[211:212], s[16:17], v[213:214]
	s_delay_alu instid0(VALU_DEP_4) | instskip(NEXT) | instid1(VALU_DEP_3)
	v_add_f64_e32 v[0:1], v[0:1], v[191:192]
	v_add_f64_e32 v[2:3], v[2:3], v[106:107]
	s_delay_alu instid0(VALU_DEP_2) | instskip(SKIP_1) | instid1(VALU_DEP_3)
	v_add_f64_e32 v[0:1], v[4:5], v[0:1]
	v_fma_f64 v[4:5], v[229:230], s[2:3], -v[231:232]
	v_add_f64_e32 v[2:3], v[6:7], v[2:3]
	v_fma_f64 v[6:7], v[235:236], s[2:3], v[237:238]
	s_delay_alu instid0(VALU_DEP_4) | instskip(NEXT) | instid1(VALU_DEP_3)
	v_add_f64_e32 v[0:1], v[8:9], v[0:1]
	v_add_f64_e32 v[2:3], v[10:11], v[2:3]
	s_delay_alu instid0(VALU_DEP_2) | instskip(SKIP_1) | instid1(VALU_DEP_3)
	v_add_f64_e32 v[156:157], v[4:5], v[0:1]
	v_add_f64_e32 v[0:1], v[64:65], v[148:149]
	;; [unrolled: 1-line block ×4, first 2 shown]
	s_delay_alu instid0(VALU_DEP_3) | instskip(NEXT) | instid1(VALU_DEP_2)
	v_add_f64_e32 v[0:1], v[0:1], v[161:162]
	v_add_f64_e32 v[2:3], v[2:3], v[163:164]
	s_delay_alu instid0(VALU_DEP_2) | instskip(NEXT) | instid1(VALU_DEP_2)
	v_add_f64_e32 v[0:1], v[0:1], v[169:170]
	v_add_f64_e32 v[2:3], v[2:3], v[171:172]
	s_delay_alu instid0(VALU_DEP_2) | instskip(NEXT) | instid1(VALU_DEP_2)
	;; [unrolled: 3-line block ×6, first 2 shown]
	v_add_f64_e32 v[0:1], v[0:1], v[154:155]
	v_add_f64_e32 v[2:3], v[2:3], v[152:153]
	s_delay_alu instid0(VALU_DEP_2)
	v_add_f64_e32 v[104:105], v[0:1], v[146:147]
	scratch_load_b32 v0, off, off offset:4  ; 4-byte Folded Reload
	v_add_f64_e32 v[106:107], v[2:3], v[144:145]
	s_wait_loadcnt 0x0
	v_lshl_add_u32 v66, v160, 4, v0
	ds_store_b128 v66, v[112:115] offset:2080
	ds_store_b128 v66, v[124:127] offset:3120
	;; [unrolled: 1-line block ×10, first 2 shown]
	ds_store_b128 v66, v[104:107]
	global_wb scope:SCOPE_SE
	s_wait_dscnt 0x0
	s_barrier_signal -1
	s_barrier_wait -1
	global_inv scope:SCOPE_SE
	s_and_saveexec_b32 s1, vcc_lo
	s_cbranch_execz .LBB0_13
; %bb.12:
	scratch_load_b32 v0, off, off           ; 4-byte Folded Reload
	s_add_nc_u64 s[2:3], s[8:9], 0x2cb0
	s_wait_loadcnt 0x0
	v_lshlrev_b32_e32 v8, 4, v0
	s_clause 0x4
	global_load_b128 v[144:147], v8, s[8:9] offset:11440
	global_load_b128 v[148:151], v8, s[2:3] offset:880
	;; [unrolled: 1-line block ×5, first 2 shown]
	ds_load_b128 v[169:172], v66
	ds_load_b128 v[173:176], v66 offset:880
	ds_load_b128 v[177:180], v66 offset:1760
	global_load_b128 v[181:184], v8, s[2:3] offset:4400
	s_wait_loadcnt_dscnt 0x401
	v_mul_f64_e32 v[4:5], v[175:176], v[150:151]
	v_mul_f64_e32 v[6:7], v[173:174], v[150:151]
	;; [unrolled: 1-line block ×4, first 2 shown]
	s_delay_alu instid0(VALU_DEP_4) | instskip(NEXT) | instid1(VALU_DEP_4)
	v_fma_f64 v[173:174], v[173:174], v[148:149], -v[4:5]
	v_fma_f64 v[175:176], v[175:176], v[148:149], v[6:7]
	s_delay_alu instid0(VALU_DEP_4) | instskip(NEXT) | instid1(VALU_DEP_4)
	v_fma_f64 v[169:170], v[169:170], v[144:145], -v[0:1]
	v_fma_f64 v[171:172], v[171:172], v[144:145], v[2:3]
	ds_load_b128 v[144:147], v66 offset:2640
	s_wait_loadcnt_dscnt 0x301
	v_mul_f64_e32 v[0:1], v[179:180], v[154:155]
	v_mul_f64_e32 v[2:3], v[177:178], v[154:155]
	s_wait_loadcnt_dscnt 0x200
	v_mul_f64_e32 v[4:5], v[146:147], v[163:164]
	v_mul_f64_e32 v[6:7], v[144:145], v[163:164]
	s_delay_alu instid0(VALU_DEP_4) | instskip(NEXT) | instid1(VALU_DEP_4)
	v_fma_f64 v[148:149], v[177:178], v[152:153], -v[0:1]
	v_fma_f64 v[150:151], v[179:180], v[152:153], v[2:3]
	ds_load_b128 v[152:155], v66 offset:3520
	ds_load_b128 v[177:180], v66 offset:4400
	v_fma_f64 v[144:145], v[144:145], v[161:162], -v[4:5]
	v_fma_f64 v[146:147], v[146:147], v[161:162], v[6:7]
	s_wait_loadcnt_dscnt 0x101
	v_mul_f64_e32 v[0:1], v[154:155], v[167:168]
	global_load_b128 v[161:164], v8, s[2:3] offset:5280
	v_mul_f64_e32 v[2:3], v[152:153], v[167:168]
	v_fma_f64 v[152:153], v[152:153], v[165:166], -v[0:1]
	s_wait_loadcnt_dscnt 0x100
	v_mul_f64_e32 v[0:1], v[179:180], v[183:184]
	s_delay_alu instid0(VALU_DEP_3) | instskip(SKIP_3) | instid1(VALU_DEP_2)
	v_fma_f64 v[154:155], v[154:155], v[165:166], v[2:3]
	global_load_b128 v[165:168], v8, s[2:3] offset:6160
	v_mul_f64_e32 v[2:3], v[177:178], v[183:184]
	v_fma_f64 v[177:178], v[177:178], v[181:182], -v[0:1]
	v_fma_f64 v[179:180], v[179:180], v[181:182], v[2:3]
	ds_load_b128 v[181:184], v66 offset:5280
	ds_load_b128 v[185:188], v66 offset:6160
	s_wait_loadcnt_dscnt 0x101
	v_mul_f64_e32 v[0:1], v[183:184], v[163:164]
	v_mul_f64_e32 v[2:3], v[181:182], v[163:164]
	s_delay_alu instid0(VALU_DEP_2) | instskip(NEXT) | instid1(VALU_DEP_2)
	v_fma_f64 v[181:182], v[181:182], v[161:162], -v[0:1]
	v_fma_f64 v[183:184], v[183:184], v[161:162], v[2:3]
	s_wait_loadcnt_dscnt 0x0
	v_mul_f64_e32 v[0:1], v[187:188], v[167:168]
	v_mul_f64_e32 v[2:3], v[185:186], v[167:168]
	s_delay_alu instid0(VALU_DEP_2) | instskip(NEXT) | instid1(VALU_DEP_2)
	v_fma_f64 v[161:162], v[185:186], v[165:166], -v[0:1]
	v_fma_f64 v[163:164], v[187:188], v[165:166], v[2:3]
	s_clause 0x1
	global_load_b128 v[165:168], v8, s[2:3] offset:7040
	global_load_b128 v[185:188], v8, s[2:3] offset:7920
	ds_load_b128 v[189:192], v66 offset:7040
	ds_load_b128 v[193:196], v66 offset:7920
	s_wait_loadcnt_dscnt 0x101
	v_mul_f64_e32 v[0:1], v[191:192], v[167:168]
	v_mul_f64_e32 v[2:3], v[189:190], v[167:168]
	s_delay_alu instid0(VALU_DEP_2) | instskip(NEXT) | instid1(VALU_DEP_2)
	v_fma_f64 v[189:190], v[189:190], v[165:166], -v[0:1]
	v_fma_f64 v[191:192], v[191:192], v[165:166], v[2:3]
	s_wait_loadcnt_dscnt 0x0
	v_mul_f64_e32 v[0:1], v[195:196], v[187:188]
	v_mul_f64_e32 v[2:3], v[193:194], v[187:188]
	s_delay_alu instid0(VALU_DEP_2) | instskip(NEXT) | instid1(VALU_DEP_2)
	v_fma_f64 v[165:166], v[193:194], v[185:186], -v[0:1]
	v_fma_f64 v[167:168], v[195:196], v[185:186], v[2:3]
	s_clause 0x1
	global_load_b128 v[185:188], v8, s[2:3] offset:8800
	global_load_b128 v[193:196], v8, s[2:3] offset:9680
	ds_load_b128 v[197:200], v66 offset:8800
	ds_load_b128 v[201:204], v66 offset:9680
	s_wait_loadcnt_dscnt 0x101
	v_mul_f64_e32 v[0:1], v[199:200], v[187:188]
	v_mul_f64_e32 v[2:3], v[197:198], v[187:188]
	s_delay_alu instid0(VALU_DEP_2) | instskip(NEXT) | instid1(VALU_DEP_2)
	v_fma_f64 v[197:198], v[197:198], v[185:186], -v[0:1]
	v_fma_f64 v[199:200], v[199:200], v[185:186], v[2:3]
	s_wait_loadcnt_dscnt 0x0
	v_mul_f64_e32 v[0:1], v[203:204], v[195:196]
	v_mul_f64_e32 v[2:3], v[201:202], v[195:196]
	s_delay_alu instid0(VALU_DEP_2) | instskip(NEXT) | instid1(VALU_DEP_2)
	v_fma_f64 v[185:186], v[201:202], v[193:194], -v[0:1]
	v_fma_f64 v[187:188], v[203:204], v[193:194], v[2:3]
	global_load_b128 v[193:196], v8, s[2:3] offset:10560
	ds_load_b128 v[201:204], v66 offset:10560
	s_wait_loadcnt_dscnt 0x0
	v_mul_f64_e32 v[0:1], v[203:204], v[195:196]
	v_mul_f64_e32 v[2:3], v[201:202], v[195:196]
	s_delay_alu instid0(VALU_DEP_2) | instskip(NEXT) | instid1(VALU_DEP_2)
	v_fma_f64 v[201:202], v[201:202], v[193:194], -v[0:1]
	v_fma_f64 v[203:204], v[203:204], v[193:194], v[2:3]
	ds_store_b128 v66, v[169:172]
	ds_store_b128 v66, v[173:176] offset:880
	ds_store_b128 v66, v[148:151] offset:1760
	;; [unrolled: 1-line block ×12, first 2 shown]
.LBB0_13:
	s_wait_alu 0xfffe
	s_or_b32 exec_lo, exec_lo, s1
	global_wb scope:SCOPE_SE
	s_wait_dscnt 0x0
	s_barrier_signal -1
	s_barrier_wait -1
	global_inv scope:SCOPE_SE
	s_and_saveexec_b32 s1, vcc_lo
	s_cbranch_execz .LBB0_15
; %bb.14:
	ds_load_b128 v[104:107], v66
	ds_load_b128 v[156:159], v66 offset:880
	ds_load_b128 v[112:115], v66 offset:1760
	;; [unrolled: 1-line block ×12, first 2 shown]
.LBB0_15:
	s_wait_alu 0xfffe
	s_or_b32 exec_lo, exec_lo, s1
	s_wait_dscnt 0x0
	v_add_f64_e64 v[179:180], v[158:159], -v[98:99]
	s_mov_b32 s20, 0x4267c47c
	s_mov_b32 s21, 0xbfddbe06
	v_add_f64_e32 v[177:178], v[156:157], v[96:97]
	v_add_f64_e64 v[169:170], v[114:115], -v[102:103]
	s_mov_b32 s2, 0xe00740e9
	s_mov_b32 s14, 0x42a4c3d2
	;; [unrolled: 1-line block ×4, first 2 shown]
	v_add_f64_e32 v[161:162], v[112:113], v[100:101]
	v_add_f64_e32 v[231:232], v[158:159], v[98:99]
	s_mov_b32 s10, 0x1ea71119
	s_mov_b32 s11, 0x3fe22d96
	v_add_f64_e64 v[227:228], v[156:157], -v[96:97]
	v_add_f64_e32 v[175:176], v[114:115], v[102:103]
	v_add_f64_e64 v[165:166], v[112:113], -v[100:101]
	v_add_f64_e64 v[191:192], v[126:127], -v[110:111]
	s_mov_b32 s18, 0x66966769
	s_mov_b32 s19, 0xbfefc445
	v_add_f64_e32 v[171:172], v[124:125], v[108:109]
	v_add_f64_e32 v[193:194], v[126:127], v[110:111]
	s_mov_b32 s16, 0xebaa3ed8
	s_mov_b32 s17, 0x3fbedb7d
	v_add_f64_e64 v[181:182], v[124:125], -v[108:109]
	v_add_f64_e64 v[213:214], v[134:135], -v[118:119]
	s_mov_b32 s24, 0x2ef20147
	s_mov_b32 s25, 0xbfedeba7
	v_add_f64_e32 v[185:186], v[132:133], v[116:117]
	v_add_f64_e32 v[211:212], v[134:135], v[118:119]
	s_mov_b32 s22, 0xb2365da1
	s_mov_b32 s23, 0xbfd6b1d8
	v_add_f64_e64 v[199:200], v[132:133], -v[116:117]
	v_add_f64_e64 v[219:220], v[142:143], -v[122:123]
	s_mov_b32 s34, 0x24c2f84
	s_mov_b32 s35, 0x3fe5384d
	s_mov_b32 s29, 0xbfe5384d
	s_wait_alu 0xfffe
	s_mov_b32 s28, s34
	v_add_f64_e32 v[195:196], v[140:141], v[120:121]
	v_mul_f64_e32 v[16:17], s[20:21], v[179:180]
	v_add_f64_e32 v[217:218], v[142:143], v[122:123]
	s_mov_b32 s26, 0xd0032e0c
	s_mov_b32 s27, 0xbfe7f3cc
	v_mul_f64_e32 v[6:7], s[14:15], v[169:170]
	v_add_f64_e64 v[207:208], v[140:141], -v[120:121]
	v_add_f64_e64 v[223:224], v[138:139], -v[130:131]
	s_mov_b32 s37, 0xbfcea1e5
	s_mov_b32 s36, 0x4bc48dbf
	v_add_f64_e32 v[203:204], v[136:137], v[128:129]
	v_mul_f64_e32 v[233:234], s[2:3], v[231:232]
	v_add_f64_e32 v[221:222], v[138:139], v[130:131]
	s_mov_b32 s30, 0x93053d00
	s_mov_b32 s31, 0xbfef11f4
	v_mul_f64_e32 v[8:9], s[10:11], v[175:176]
	v_add_f64_e64 v[225:226], v[136:137], -v[128:129]
	v_mul_f64_e32 v[10:11], s[18:19], v[191:192]
	v_mul_f64_e32 v[209:210], s[14:15], v[179:180]
	;; [unrolled: 1-line block ×6, first 2 shown]
	s_wait_alu 0xfffe
	v_mul_f64_e32 v[237:238], s[36:37], v[191:192]
	v_mul_f64_e32 v[249:250], s[30:31], v[193:194]
	;; [unrolled: 1-line block ×4, first 2 shown]
	s_mov_b32 s41, 0x3fefc445
	s_mov_b32 s40, s18
	v_mul_f64_e32 v[20:21], s[22:23], v[211:212]
	v_mul_f64_e32 v[247:248], s[26:27], v[211:212]
	s_mov_b32 s39, 0x3fddbe06
	s_mov_b32 s38, s20
	v_mul_f64_e32 v[18:19], s[28:29], v[219:220]
	s_wait_alu 0xfffe
	v_mul_f64_e32 v[243:244], s[40:41], v[219:220]
	v_mul_f64_e32 v[229:230], s[18:19], v[179:180]
	;; [unrolled: 1-line block ×4, first 2 shown]
	s_mov_b32 s43, 0x3fedeba7
	v_fma_f64 v[0:1], v[177:178], s[2:3], -v[16:17]
	v_mul_f64_e32 v[67:68], s[26:27], v[217:218]
	v_mul_f64_e32 v[251:252], s[16:17], v[217:218]
	s_mov_b32 s42, s24
	v_fma_f64 v[2:3], v[161:162], s[10:11], -v[6:7]
	s_wait_alu 0xfffe
	v_mul_f64_e32 v[173:174], s[42:43], v[191:192]
	v_mul_f64_e32 v[22:23], s[36:37], v[223:224]
	;; [unrolled: 1-line block ×9, first 2 shown]
	v_fma_f64 v[4:5], v[165:166], s[14:15], v[8:9]
	v_mul_f64_e32 v[205:206], s[10:11], v[217:218]
	v_mul_f64_e32 v[167:168], s[28:29], v[223:224]
	;; [unrolled: 1-line block ×3, first 2 shown]
	v_add_f64_e32 v[0:1], v[104:105], v[0:1]
	s_delay_alu instid0(VALU_DEP_1) | instskip(SKIP_1) | instid1(VALU_DEP_1)
	v_add_f64_e32 v[0:1], v[2:3], v[0:1]
	v_fma_f64 v[2:3], v[227:228], s[20:21], v[233:234]
	v_add_f64_e32 v[2:3], v[106:107], v[2:3]
	s_delay_alu instid0(VALU_DEP_1) | instskip(SKIP_1) | instid1(VALU_DEP_1)
	v_add_f64_e32 v[2:3], v[4:5], v[2:3]
	v_fma_f64 v[4:5], v[171:172], s[16:17], -v[10:11]
	v_add_f64_e32 v[0:1], v[4:5], v[0:1]
	v_fma_f64 v[4:5], v[181:182], s[18:19], v[12:13]
	s_delay_alu instid0(VALU_DEP_1) | instskip(SKIP_1) | instid1(VALU_DEP_1)
	v_add_f64_e32 v[2:3], v[4:5], v[2:3]
	v_fma_f64 v[4:5], v[185:186], s[22:23], -v[14:15]
	v_add_f64_e32 v[0:1], v[4:5], v[0:1]
	v_fma_f64 v[4:5], v[199:200], s[24:25], v[20:21]
	;; [unrolled: 5-line block ×4, first 2 shown]
	v_fma_f64 v[4:5], v[165:166], s[24:25], v[239:240]
	s_delay_alu instid0(VALU_DEP_2) | instskip(SKIP_2) | instid1(VALU_DEP_2)
	v_add_f64_e32 v[150:151], v[0:1], v[2:3]
	v_fma_f64 v[0:1], v[177:178], s[10:11], -v[209:210]
	v_fma_f64 v[2:3], v[161:162], s[22:23], -v[235:236]
	v_add_f64_e32 v[0:1], v[104:105], v[0:1]
	s_delay_alu instid0(VALU_DEP_1) | instskip(SKIP_1) | instid1(VALU_DEP_1)
	v_add_f64_e32 v[0:1], v[2:3], v[0:1]
	v_fma_f64 v[2:3], v[227:228], s[14:15], v[215:216]
	v_add_f64_e32 v[2:3], v[106:107], v[2:3]
	s_delay_alu instid0(VALU_DEP_1) | instskip(SKIP_1) | instid1(VALU_DEP_1)
	v_add_f64_e32 v[2:3], v[4:5], v[2:3]
	v_fma_f64 v[4:5], v[171:172], s[30:31], -v[237:238]
	v_add_f64_e32 v[0:1], v[4:5], v[0:1]
	v_fma_f64 v[4:5], v[181:182], s[36:37], v[249:250]
	s_delay_alu instid0(VALU_DEP_1) | instskip(SKIP_1) | instid1(VALU_DEP_1)
	v_add_f64_e32 v[2:3], v[4:5], v[2:3]
	v_fma_f64 v[4:5], v[185:186], s[26:27], -v[241:242]
	v_add_f64_e32 v[0:1], v[4:5], v[0:1]
	v_fma_f64 v[4:5], v[199:200], s[34:35], v[247:248]
	;; [unrolled: 5-line block ×4, first 2 shown]
	v_fma_f64 v[4:5], v[165:166], s[36:37], v[163:164]
	s_delay_alu instid0(VALU_DEP_2) | instskip(SKIP_2) | instid1(VALU_DEP_2)
	v_add_f64_e32 v[154:155], v[0:1], v[2:3]
	v_fma_f64 v[0:1], v[177:178], s[16:17], -v[229:230]
	v_mul_f64_e32 v[2:3], s[36:37], v[169:170]
	v_add_f64_e32 v[0:1], v[104:105], v[0:1]
	scratch_store_b64 off, v[2:3], off offset:160 ; 8-byte Folded Spill
	v_fma_f64 v[2:3], v[161:162], s[30:31], -v[2:3]
	global_wb scope:SCOPE_SE
	s_wait_storecnt 0x0
	s_barrier_signal -1
	s_barrier_wait -1
	global_inv scope:SCOPE_SE
	v_add_f64_e32 v[0:1], v[2:3], v[0:1]
	v_fma_f64 v[2:3], v[227:228], s[18:19], v[64:65]
	s_delay_alu instid0(VALU_DEP_1) | instskip(NEXT) | instid1(VALU_DEP_1)
	v_add_f64_e32 v[2:3], v[106:107], v[2:3]
	v_add_f64_e32 v[2:3], v[4:5], v[2:3]
	v_fma_f64 v[4:5], v[171:172], s[22:23], -v[173:174]
	s_delay_alu instid0(VALU_DEP_1) | instskip(SKIP_1) | instid1(VALU_DEP_1)
	v_add_f64_e32 v[0:1], v[4:5], v[0:1]
	v_fma_f64 v[4:5], v[181:182], s[42:43], v[201:202]
	v_add_f64_e32 v[2:3], v[4:5], v[2:3]
	v_fma_f64 v[4:5], v[185:186], s[2:3], -v[183:184]
	s_delay_alu instid0(VALU_DEP_1) | instskip(SKIP_1) | instid1(VALU_DEP_1)
	v_add_f64_e32 v[0:1], v[4:5], v[0:1]
	v_fma_f64 v[4:5], v[199:200], s[38:39], v[189:190]
	;; [unrolled: 5-line block ×4, first 2 shown]
	v_add_f64_e32 v[146:147], v[0:1], v[2:3]
	s_and_saveexec_b32 s1, vcc_lo
	s_cbranch_execz .LBB0_17
; %bb.16:
	v_add_f64_e32 v[0:1], v[106:107], v[158:159]
	v_add_f64_e32 v[2:3], v[104:105], v[156:157]
	v_mul_f64_e32 v[4:5], s[28:29], v[227:228]
	v_dual_mov_b32 v156, v237 :: v_dual_mov_b32 v157, v238
	v_dual_mov_b32 v238, v11 :: v_dual_mov_b32 v237, v10
	v_dual_mov_b32 v158, v239 :: v_dual_mov_b32 v159, v240
	v_dual_mov_b32 v240, v15 :: v_dual_mov_b32 v239, v14
	v_mul_f64_e32 v[14:15], s[16:17], v[177:178]
	v_add_f64_e32 v[0:1], v[0:1], v[114:115]
	v_add_f64_e32 v[2:3], v[2:3], v[112:113]
	v_mul_f64_e32 v[112:113], s[28:29], v[191:192]
	s_delay_alu instid0(VALU_DEP_4)
	v_add_f64_e32 v[14:15], v[14:15], v[229:230]
	v_dual_mov_b32 v230, v68 :: v_dual_mov_b32 v229, v67
	v_mul_f64_e32 v[67:68], s[24:25], v[179:180]
	v_add_f64_e32 v[0:1], v[0:1], v[126:127]
	v_add_f64_e32 v[2:3], v[2:3], v[124:125]
	v_mul_f64_e32 v[124:125], s[14:15], v[191:192]
	v_add_f64_e32 v[14:15], v[104:105], v[14:15]
	s_delay_alu instid0(VALU_DEP_4) | instskip(NEXT) | instid1(VALU_DEP_4)
	v_add_f64_e32 v[0:1], v[0:1], v[134:135]
	v_add_f64_e32 v[2:3], v[2:3], v[132:133]
	v_mul_f64_e32 v[134:135], s[36:37], v[225:226]
	s_delay_alu instid0(VALU_DEP_3) | instskip(NEXT) | instid1(VALU_DEP_3)
	v_add_f64_e32 v[0:1], v[0:1], v[142:143]
	v_add_f64_e32 v[2:3], v[2:3], v[140:141]
	v_dual_mov_b32 v142, v235 :: v_dual_mov_b32 v143, v236
	v_dual_mov_b32 v236, v9 :: v_dual_mov_b32 v235, v8
	v_mul_f64_e32 v[8:9], s[24:25], v[227:228]
	v_mul_f64_e32 v[140:141], s[24:25], v[225:226]
	v_add_f64_e32 v[0:1], v[0:1], v[138:139]
	v_add_f64_e32 v[2:3], v[2:3], v[136:137]
	v_mul_f64_e32 v[136:137], s[38:39], v[207:208]
	v_mul_f64_e32 v[138:139], s[38:39], v[219:220]
	v_fma_f64 v[10:11], v[231:232], s[22:23], v[8:9]
	v_fma_f64 v[8:9], v[231:232], s[22:23], -v[8:9]
	v_add_f64_e32 v[0:1], v[0:1], v[130:131]
	v_add_f64_e32 v[2:3], v[2:3], v[128:129]
	s_delay_alu instid0(VALU_DEP_4) | instskip(NEXT) | instid1(VALU_DEP_4)
	v_add_f64_e32 v[10:11], v[106:107], v[10:11]
	v_add_f64_e32 v[8:9], v[106:107], v[8:9]
	s_delay_alu instid0(VALU_DEP_4) | instskip(NEXT) | instid1(VALU_DEP_4)
	v_add_f64_e32 v[0:1], v[0:1], v[122:123]
	v_add_f64_e32 v[2:3], v[2:3], v[120:121]
	v_mul_f64_e32 v[120:121], s[24:25], v[219:220]
	v_mul_f64_e32 v[122:123], s[40:41], v[225:226]
	s_delay_alu instid0(VALU_DEP_4) | instskip(NEXT) | instid1(VALU_DEP_4)
	v_add_f64_e32 v[0:1], v[0:1], v[118:119]
	v_add_f64_e32 v[2:3], v[2:3], v[116:117]
	v_mul_f64_e32 v[118:119], s[24:25], v[207:208]
	s_delay_alu instid0(VALU_DEP_3) | instskip(NEXT) | instid1(VALU_DEP_3)
	v_add_f64_e32 v[0:1], v[0:1], v[110:111]
	v_add_f64_e32 v[2:3], v[2:3], v[108:109]
	v_dual_mov_b32 v111, v17 :: v_dual_mov_b32 v110, v16
	v_mul_f64_e32 v[16:17], s[14:15], v[227:228]
	v_mul_f64_e32 v[108:109], s[2:3], v[177:178]
	v_add_f64_e32 v[0:1], v[0:1], v[102:103]
	v_add_f64_e32 v[2:3], v[2:3], v[100:101]
	v_dual_mov_b32 v100, v233 :: v_dual_mov_b32 v101, v234
	v_dual_mov_b32 v234, v7 :: v_dual_mov_b32 v233, v6
	v_fma_f64 v[6:7], v[231:232], s[26:27], v[4:5]
	v_fma_f64 v[4:5], v[231:232], s[26:27], -v[4:5]
	v_add_f64_e64 v[16:17], v[215:216], -v[16:17]
	v_dual_mov_b32 v216, v19 :: v_dual_mov_b32 v215, v18
	v_mul_f64_e32 v[18:19], s[10:11], v[177:178]
	v_fma_f64 v[102:103], v[177:178], s[22:23], -v[67:68]
	v_fma_f64 v[67:68], v[177:178], s[22:23], v[67:68]
	v_add_f64_e32 v[108:109], v[108:109], v[110:111]
	v_add_f64_e32 v[98:99], v[0:1], v[98:99]
	v_mul_f64_e32 v[0:1], s[36:37], v[227:228]
	v_add_f64_e32 v[96:97], v[2:3], v[96:97]
	v_add_f64_e32 v[6:7], v[106:107], v[6:7]
	;; [unrolled: 1-line block ×5, first 2 shown]
	v_dual_mov_b32 v210, v21 :: v_dual_mov_b32 v209, v20
	v_mul_f64_e32 v[20:21], s[20:21], v[227:228]
	v_add_f64_e32 v[128:129], v[104:105], v[102:103]
	v_add_f64_e32 v[67:68], v[104:105], v[67:68]
	v_add_f64_e32 v[132:133], v[104:105], v[108:109]
	v_mul_f64_e32 v[108:109], s[28:29], v[181:182]
	s_mov_b32 s21, 0x3fea55e2
	s_mov_b32 s20, s14
	s_wait_alu 0xfffe
	v_mul_f64_e32 v[114:115], s[20:21], v[199:200]
	v_mul_f64_e32 v[116:117], s[20:21], v[213:214]
	v_fma_f64 v[2:3], v[231:232], s[30:31], v[0:1]
	v_fma_f64 v[0:1], v[231:232], s[30:31], -v[0:1]
	v_dual_mov_b32 v232, v13 :: v_dual_mov_b32 v231, v12
	v_mul_f64_e32 v[12:13], s[18:19], v[227:228]
	v_dual_mov_b32 v228, v23 :: v_dual_mov_b32 v227, v22
	v_mul_f64_e32 v[22:23], s[36:37], v[179:180]
	v_add_f64_e32 v[18:19], v[104:105], v[18:19]
	v_add_f64_e64 v[20:21], v[100:101], -v[20:21]
	v_add_f64_e32 v[2:3], v[106:107], v[2:3]
	v_add_f64_e32 v[0:1], v[106:107], v[0:1]
	v_add_f64_e64 v[12:13], v[64:65], -v[12:13]
	v_mul_f64_e32 v[64:65], s[28:29], v[179:180]
	v_dual_mov_b32 v180, v70 :: v_dual_mov_b32 v179, v69
	v_fma_f64 v[69:70], v[177:178], s[30:31], -v[22:23]
	v_fma_f64 v[22:23], v[177:178], s[30:31], v[22:23]
	v_add_f64_e32 v[20:21], v[106:107], v[20:21]
	v_add_f64_e32 v[12:13], v[106:107], v[12:13]
	v_fma_f64 v[100:101], v[177:178], s[26:27], -v[64:65]
	v_fma_f64 v[64:65], v[177:178], s[26:27], v[64:65]
	v_mul_f64_e32 v[106:107], s[38:39], v[169:170]
	v_add_f64_e32 v[69:70], v[104:105], v[69:70]
	v_add_f64_e32 v[22:23], v[104:105], v[22:23]
	;; [unrolled: 1-line block ×4, first 2 shown]
	v_mul_f64_e32 v[104:105], s[38:39], v[165:166]
	s_delay_alu instid0(VALU_DEP_1) | instskip(NEXT) | instid1(VALU_DEP_1)
	v_fma_f64 v[100:101], v[175:176], s[2:3], v[104:105]
	v_add_f64_e32 v[2:3], v[100:101], v[2:3]
	v_fma_f64 v[100:101], v[161:162], s[2:3], -v[106:107]
	s_delay_alu instid0(VALU_DEP_1) | instskip(SKIP_1) | instid1(VALU_DEP_1)
	v_add_f64_e32 v[69:70], v[100:101], v[69:70]
	v_fma_f64 v[100:101], v[193:194], s[26:27], v[108:109]
	v_add_f64_e32 v[2:3], v[100:101], v[2:3]
	v_fma_f64 v[100:101], v[171:172], s[26:27], -v[112:113]
	s_delay_alu instid0(VALU_DEP_1) | instskip(SKIP_1) | instid1(VALU_DEP_1)
	v_add_f64_e32 v[69:70], v[100:101], v[69:70]
	;; [unrolled: 5-line block ×4, first 2 shown]
	v_fma_f64 v[100:101], v[221:222], s[16:17], v[122:123]
	v_add_f64_e32 v[102:103], v[100:101], v[2:3]
	v_mul_f64_e32 v[2:3], s[40:41], v[223:224]
	s_delay_alu instid0(VALU_DEP_1) | instskip(SKIP_1) | instid1(VALU_DEP_2)
	v_fma_f64 v[100:101], v[203:204], s[16:17], -v[2:3]
	v_fma_f64 v[2:3], v[203:204], s[16:17], v[2:3]
	v_add_f64_e32 v[100:101], v[100:101], v[69:70]
	v_fma_f64 v[69:70], v[175:176], s[2:3], -v[104:105]
	s_delay_alu instid0(VALU_DEP_1) | instskip(SKIP_1) | instid1(VALU_DEP_1)
	v_add_f64_e32 v[0:1], v[69:70], v[0:1]
	v_fma_f64 v[69:70], v[161:162], s[2:3], v[106:107]
	v_add_f64_e32 v[22:23], v[69:70], v[22:23]
	v_fma_f64 v[69:70], v[193:194], s[26:27], -v[108:109]
	s_delay_alu instid0(VALU_DEP_1) | instskip(SKIP_2) | instid1(VALU_DEP_2)
	v_add_f64_e32 v[0:1], v[69:70], v[0:1]
	v_fma_f64 v[69:70], v[171:172], s[26:27], v[112:113]
	v_mul_f64_e32 v[112:113], s[36:37], v[181:182]
	v_add_f64_e32 v[22:23], v[69:70], v[22:23]
	v_fma_f64 v[69:70], v[211:212], s[10:11], -v[114:115]
	v_mul_f64_e32 v[114:115], s[22:23], v[161:162]
	s_delay_alu instid0(VALU_DEP_2) | instskip(SKIP_3) | instid1(VALU_DEP_4)
	v_add_f64_e32 v[0:1], v[69:70], v[0:1]
	v_fma_f64 v[69:70], v[185:186], s[10:11], v[116:117]
	v_mul_f64_e32 v[116:117], s[36:37], v[165:166]
	s_mov_b32 s37, 0x3fcea1e5
	v_add_f64_e32 v[114:115], v[114:115], v[142:143]
	s_wait_alu 0xfffe
	v_mul_f64_e32 v[126:127], s[36:37], v[199:200]
	v_mul_f64_e32 v[130:131], s[36:37], v[213:214]
	;; [unrolled: 1-line block ×3, first 2 shown]
	v_add_f64_e32 v[22:23], v[69:70], v[22:23]
	v_fma_f64 v[69:70], v[217:218], s[22:23], -v[118:119]
	v_mul_f64_e32 v[118:119], s[30:31], v[171:172]
	v_add_f64_e32 v[18:19], v[114:115], v[18:19]
	v_mul_f64_e32 v[114:115], s[2:3], v[203:204]
	v_add_f64_e64 v[142:143], v[251:252], -v[142:143]
	v_add_f64_e32 v[0:1], v[69:70], v[0:1]
	v_fma_f64 v[69:70], v[195:196], s[22:23], v[120:121]
	v_add_f64_e32 v[118:119], v[118:119], v[156:157]
	v_mul_f64_e32 v[120:121], s[34:35], v[199:200]
	v_mul_f64_e32 v[156:157], s[36:37], v[207:208]
	s_delay_alu instid0(VALU_DEP_4)
	v_add_f64_e32 v[22:23], v[69:70], v[22:23]
	v_fma_f64 v[69:70], v[221:222], s[16:17], -v[122:123]
	v_mul_f64_e32 v[122:123], s[26:27], v[185:186]
	v_add_f64_e32 v[18:19], v[118:119], v[18:19]
	v_add_f64_e32 v[118:119], v[114:115], v[245:246]
	v_add_f64_e64 v[120:121], v[247:248], -v[120:121]
	v_add_f64_e32 v[104:105], v[2:3], v[22:23]
	v_add_f64_e32 v[106:107], v[69:70], v[0:1]
	v_mul_f64_e32 v[0:1], s[40:41], v[165:166]
	v_mul_f64_e32 v[69:70], s[14:15], v[181:182]
	v_add_f64_e32 v[122:123], v[122:123], v[241:242]
	s_delay_alu instid0(VALU_DEP_3) | instskip(NEXT) | instid1(VALU_DEP_3)
	v_fma_f64 v[2:3], v[175:176], s[16:17], v[0:1]
	v_fma_f64 v[108:109], v[193:194], s[10:11], v[69:70]
	s_delay_alu instid0(VALU_DEP_3) | instskip(SKIP_4) | instid1(VALU_DEP_4)
	v_add_f64_e32 v[18:19], v[122:123], v[18:19]
	v_mul_f64_e32 v[122:123], s[14:15], v[207:208]
	v_fma_f64 v[0:1], v[175:176], s[16:17], -v[0:1]
	v_add_f64_e32 v[2:3], v[2:3], v[6:7]
	v_mul_f64_e32 v[6:7], s[40:41], v[169:170]
	v_add_f64_e64 v[122:123], v[205:206], -v[122:123]
	s_delay_alu instid0(VALU_DEP_4) | instskip(NEXT) | instid1(VALU_DEP_4)
	v_add_f64_e32 v[0:1], v[0:1], v[4:5]
	v_add_f64_e32 v[2:3], v[108:109], v[2:3]
	s_delay_alu instid0(VALU_DEP_4) | instskip(SKIP_3) | instid1(VALU_DEP_4)
	v_fma_f64 v[22:23], v[161:162], s[16:17], -v[6:7]
	v_fma_f64 v[108:109], v[171:172], s[10:11], -v[124:125]
	v_fma_f64 v[4:5], v[161:162], s[16:17], v[6:7]
	v_fma_f64 v[6:7], v[193:194], s[10:11], -v[69:70]
	v_add_f64_e32 v[22:23], v[22:23], v[110:111]
	s_delay_alu instid0(VALU_DEP_3) | instskip(NEXT) | instid1(VALU_DEP_3)
	v_add_f64_e32 v[4:5], v[4:5], v[64:65]
	v_add_f64_e32 v[0:1], v[6:7], v[0:1]
	v_fma_f64 v[6:7], v[171:172], s[10:11], v[124:125]
	s_delay_alu instid0(VALU_DEP_4) | instskip(SKIP_1) | instid1(VALU_DEP_3)
	v_add_f64_e32 v[22:23], v[108:109], v[22:23]
	v_fma_f64 v[108:109], v[211:212], s[30:31], v[126:127]
	v_add_f64_e32 v[4:5], v[6:7], v[4:5]
	v_fma_f64 v[6:7], v[211:212], s[30:31], -v[126:127]
	s_delay_alu instid0(VALU_DEP_3) | instskip(SKIP_1) | instid1(VALU_DEP_3)
	v_add_f64_e32 v[2:3], v[108:109], v[2:3]
	v_fma_f64 v[108:109], v[185:186], s[30:31], -v[130:131]
	v_add_f64_e32 v[0:1], v[6:7], v[0:1]
	v_fma_f64 v[6:7], v[185:186], s[30:31], v[130:131]
	s_delay_alu instid0(VALU_DEP_3) | instskip(SKIP_1) | instid1(VALU_DEP_3)
	v_add_f64_e32 v[22:23], v[108:109], v[22:23]
	v_fma_f64 v[108:109], v[217:218], s[2:3], v[136:137]
	v_add_f64_e32 v[4:5], v[6:7], v[4:5]
	v_fma_f64 v[6:7], v[217:218], s[2:3], -v[136:137]
	s_delay_alu instid0(VALU_DEP_3) | instskip(SKIP_1) | instid1(VALU_DEP_3)
	v_add_f64_e32 v[2:3], v[108:109], v[2:3]
	v_fma_f64 v[108:109], v[195:196], s[2:3], -v[138:139]
	v_add_f64_e32 v[0:1], v[6:7], v[0:1]
	v_fma_f64 v[6:7], v[195:196], s[2:3], v[138:139]
	s_delay_alu instid0(VALU_DEP_3) | instskip(SKIP_1) | instid1(VALU_DEP_3)
	v_add_f64_e32 v[22:23], v[108:109], v[22:23]
	v_fma_f64 v[108:109], v[221:222], s[22:23], v[140:141]
	v_add_f64_e32 v[4:5], v[6:7], v[4:5]
	v_fma_f64 v[6:7], v[221:222], s[22:23], -v[140:141]
	s_delay_alu instid0(VALU_DEP_3) | instskip(SKIP_1) | instid1(VALU_DEP_3)
	v_add_f64_e32 v[110:111], v[108:109], v[2:3]
	v_mul_f64_e32 v[2:3], s[24:25], v[223:224]
	v_add_f64_e32 v[126:127], v[6:7], v[0:1]
	v_fma_f64 v[6:7], v[217:218], s[30:31], v[156:157]
	s_delay_alu instid0(VALU_DEP_3) | instskip(SKIP_1) | instid1(VALU_DEP_2)
	v_fma_f64 v[108:109], v[203:204], s[22:23], -v[2:3]
	v_fma_f64 v[2:3], v[203:204], s[22:23], v[2:3]
	v_add_f64_e32 v[108:109], v[108:109], v[22:23]
	v_add_f64_e64 v[22:23], v[249:250], -v[112:113]
	v_mul_f64_e32 v[112:113], s[24:25], v[165:166]
	s_delay_alu instid0(VALU_DEP_4) | instskip(NEXT) | instid1(VALU_DEP_2)
	v_add_f64_e32 v[124:125], v[2:3], v[4:5]
	v_add_f64_e64 v[112:113], v[158:159], -v[112:113]
	v_mul_f64_e32 v[158:159], s[36:37], v[219:220]
	s_delay_alu instid0(VALU_DEP_2) | instskip(SKIP_1) | instid1(VALU_DEP_2)
	v_add_f64_e32 v[16:17], v[112:113], v[16:17]
	v_mul_f64_e32 v[112:113], s[16:17], v[195:196]
	v_add_f64_e32 v[16:17], v[22:23], v[16:17]
	s_delay_alu instid0(VALU_DEP_2) | instskip(SKIP_1) | instid1(VALU_DEP_3)
	v_add_f64_e32 v[112:113], v[112:113], v[243:244]
	v_mul_f64_e32 v[22:23], s[38:39], v[225:226]
	v_add_f64_e32 v[16:17], v[120:121], v[16:17]
	s_delay_alu instid0(VALU_DEP_3) | instskip(NEXT) | instid1(VALU_DEP_3)
	v_add_f64_e32 v[18:19], v[112:113], v[18:19]
	v_add_f64_e64 v[22:23], v[253:254], -v[22:23]
	v_mul_f64_e32 v[120:121], s[2:3], v[185:186]
	s_delay_alu instid0(VALU_DEP_4) | instskip(NEXT) | instid1(VALU_DEP_4)
	v_add_f64_e32 v[16:17], v[142:143], v[16:17]
	v_add_f64_e32 v[112:113], v[118:119], v[18:19]
	scratch_load_b64 v[118:119], off, off offset:160 th:TH_LOAD_LU ; 8-byte Folded Reload
	v_add_f64_e64 v[18:19], v[163:164], -v[116:117]
	v_mul_f64_e32 v[116:117], s[30:31], v[161:162]
	v_add_f64_e32 v[120:121], v[120:121], v[183:184]
	v_mul_f64_e32 v[142:143], s[18:19], v[213:214]
	v_mul_f64_e32 v[163:164], s[20:21], v[225:226]
	v_add_f64_e32 v[114:115], v[22:23], v[16:17]
	v_mul_f64_e32 v[16:17], s[42:43], v[181:182]
	;; [unrolled: 3-line block ×3, first 2 shown]
	s_delay_alu instid0(VALU_DEP_4) | instskip(NEXT) | instid1(VALU_DEP_4)
	v_add_f64_e64 v[16:17], v[201:202], -v[16:17]
	v_add_f64_e32 v[22:23], v[22:23], v[173:174]
	s_delay_alu instid0(VALU_DEP_3) | instskip(NEXT) | instid1(VALU_DEP_3)
	v_add_f64_e32 v[18:19], v[18:19], v[187:188]
	v_add_f64_e32 v[12:13], v[16:17], v[12:13]
	v_mul_f64_e32 v[16:17], s[28:29], v[225:226]
	s_delay_alu instid0(VALU_DEP_1) | instskip(SKIP_3) | instid1(VALU_DEP_2)
	v_add_f64_e64 v[16:17], v[197:198], -v[16:17]
	s_wait_loadcnt 0x0
	v_add_f64_e32 v[116:117], v[116:117], v[118:119]
	v_mul_f64_e32 v[118:119], s[38:39], v[199:200]
	v_add_f64_e32 v[14:15], v[116:117], v[14:15]
	s_delay_alu instid0(VALU_DEP_2) | instskip(NEXT) | instid1(VALU_DEP_2)
	v_add_f64_e64 v[118:119], v[189:190], -v[118:119]
	v_add_f64_e32 v[14:15], v[22:23], v[14:15]
	s_delay_alu instid0(VALU_DEP_2) | instskip(SKIP_1) | instid1(VALU_DEP_3)
	v_add_f64_e32 v[12:13], v[118:119], v[12:13]
	v_mul_f64_e32 v[22:23], s[26:27], v[203:204]
	v_add_f64_e32 v[14:15], v[120:121], v[14:15]
	s_delay_alu instid0(VALU_DEP_3) | instskip(NEXT) | instid1(VALU_DEP_3)
	v_add_f64_e32 v[12:13], v[122:123], v[12:13]
	v_add_f64_e32 v[22:23], v[22:23], v[167:168]
	v_mul_f64_e32 v[167:168], s[20:21], v[223:224]
	s_delay_alu instid0(VALU_DEP_4) | instskip(NEXT) | instid1(VALU_DEP_4)
	v_add_f64_e32 v[14:15], v[18:19], v[14:15]
	v_add_f64_e32 v[118:119], v[16:17], v[12:13]
	v_mul_f64_e32 v[12:13], s[34:35], v[165:166]
	v_mul_f64_e32 v[18:19], s[38:39], v[181:182]
	s_delay_alu instid0(VALU_DEP_4) | instskip(NEXT) | instid1(VALU_DEP_3)
	v_add_f64_e32 v[116:117], v[22:23], v[14:15]
	v_fma_f64 v[14:15], v[175:176], s[26:27], -v[12:13]
	s_delay_alu instid0(VALU_DEP_3)
	v_fma_f64 v[22:23], v[193:194], s[2:3], -v[18:19]
	v_fma_f64 v[0:1], v[175:176], s[26:27], v[12:13]
	v_fma_f64 v[2:3], v[193:194], s[2:3], v[18:19]
	v_mul_f64_e32 v[12:13], s[28:29], v[207:208]
	v_add_f64_e32 v[8:9], v[14:15], v[8:9]
	v_mul_f64_e32 v[14:15], s[34:35], v[169:170]
	v_add_f64_e32 v[0:1], v[0:1], v[10:11]
	s_delay_alu instid0(VALU_DEP_4) | instskip(NEXT) | instid1(VALU_DEP_4)
	v_add_f64_e64 v[12:13], v[229:230], -v[12:13]
	v_add_f64_e32 v[8:9], v[22:23], v[8:9]
	s_delay_alu instid0(VALU_DEP_4) | instskip(SKIP_3) | instid1(VALU_DEP_4)
	v_fma_f64 v[16:17], v[161:162], s[26:27], v[14:15]
	v_mul_f64_e32 v[22:23], s[38:39], v[191:192]
	v_fma_f64 v[10:11], v[161:162], s[26:27], -v[14:15]
	v_add_f64_e32 v[0:1], v[2:3], v[0:1]
	v_add_f64_e32 v[16:17], v[16:17], v[67:68]
	s_delay_alu instid0(VALU_DEP_4) | instskip(NEXT) | instid1(VALU_DEP_4)
	v_fma_f64 v[67:68], v[171:172], s[2:3], v[22:23]
	v_add_f64_e32 v[10:11], v[10:11], v[128:129]
	v_fma_f64 v[2:3], v[171:172], s[2:3], -v[22:23]
	s_delay_alu instid0(VALU_DEP_3) | instskip(SKIP_1) | instid1(VALU_DEP_3)
	v_add_f64_e32 v[16:17], v[67:68], v[16:17]
	v_mul_f64_e32 v[67:68], s[18:19], v[199:200]
	v_add_f64_e32 v[2:3], v[2:3], v[10:11]
	v_mul_f64_e32 v[10:11], s[22:23], v[185:186]
	s_delay_alu instid0(VALU_DEP_3) | instskip(SKIP_1) | instid1(VALU_DEP_3)
	v_fma_f64 v[120:121], v[211:212], s[16:17], -v[67:68]
	v_fma_f64 v[4:5], v[211:212], s[16:17], v[67:68]
	v_add_f64_e32 v[10:11], v[10:11], v[239:240]
	s_delay_alu instid0(VALU_DEP_3) | instskip(SKIP_1) | instid1(VALU_DEP_4)
	v_add_f64_e32 v[8:9], v[120:121], v[8:9]
	v_fma_f64 v[120:121], v[185:186], s[16:17], v[142:143]
	v_add_f64_e32 v[0:1], v[4:5], v[0:1]
	v_fma_f64 v[4:5], v[185:186], s[16:17], -v[142:143]
	s_delay_alu instid0(VALU_DEP_3) | instskip(SKIP_1) | instid1(VALU_DEP_3)
	v_add_f64_e32 v[16:17], v[120:121], v[16:17]
	v_fma_f64 v[120:121], v[217:218], s[30:31], -v[156:157]
	v_add_f64_e32 v[2:3], v[4:5], v[2:3]
	v_add_f64_e32 v[0:1], v[6:7], v[0:1]
	v_fma_f64 v[4:5], v[195:196], s[30:31], -v[158:159]
	v_mul_f64_e32 v[6:7], s[16:17], v[171:172]
	v_add_f64_e32 v[8:9], v[120:121], v[8:9]
	v_fma_f64 v[120:121], v[195:196], s[30:31], v[158:159]
	s_delay_alu instid0(VALU_DEP_4) | instskip(SKIP_2) | instid1(VALU_DEP_4)
	v_add_f64_e32 v[2:3], v[4:5], v[2:3]
	v_fma_f64 v[4:5], v[203:204], s[10:11], -v[167:168]
	v_add_f64_e32 v[6:7], v[6:7], v[237:238]
	v_add_f64_e32 v[16:17], v[120:121], v[16:17]
	v_fma_f64 v[120:121], v[221:222], s[10:11], -v[163:164]
	s_delay_alu instid0(VALU_DEP_4) | instskip(SKIP_2) | instid1(VALU_DEP_4)
	v_add_f64_e32 v[128:129], v[4:5], v[2:3]
	v_mul_f64_e32 v[4:5], s[18:19], v[181:182]
	v_mul_f64_e32 v[2:3], s[10:11], v[161:162]
	v_add_f64_e32 v[122:123], v[120:121], v[8:9]
	v_fma_f64 v[8:9], v[203:204], s[10:11], v[167:168]
	s_delay_alu instid0(VALU_DEP_4) | instskip(NEXT) | instid1(VALU_DEP_4)
	v_add_f64_e64 v[4:5], v[231:232], -v[4:5]
	v_add_f64_e32 v[2:3], v[2:3], v[233:234]
	s_delay_alu instid0(VALU_DEP_3) | instskip(SKIP_1) | instid1(VALU_DEP_3)
	v_add_f64_e32 v[120:121], v[8:9], v[16:17]
	v_fma_f64 v[8:9], v[221:222], s[10:11], v[163:164]
	v_add_f64_e32 v[2:3], v[2:3], v[132:133]
	s_delay_alu instid0(VALU_DEP_2) | instskip(SKIP_2) | instid1(VALU_DEP_4)
	v_add_f64_e32 v[130:131], v[8:9], v[0:1]
	v_mul_f64_e32 v[0:1], s[14:15], v[165:166]
	v_mul_f64_e32 v[8:9], s[24:25], v[199:200]
	v_add_f64_e32 v[2:3], v[6:7], v[2:3]
	v_add_f64_e64 v[6:7], v[179:180], -v[134:135]
	s_delay_alu instid0(VALU_DEP_4) | instskip(NEXT) | instid1(VALU_DEP_4)
	v_add_f64_e64 v[0:1], v[235:236], -v[0:1]
	v_add_f64_e64 v[8:9], v[209:210], -v[8:9]
	s_delay_alu instid0(VALU_DEP_4) | instskip(NEXT) | instid1(VALU_DEP_3)
	v_add_f64_e32 v[2:3], v[10:11], v[2:3]
	v_add_f64_e32 v[0:1], v[0:1], v[20:21]
	s_delay_alu instid0(VALU_DEP_1) | instskip(SKIP_1) | instid1(VALU_DEP_2)
	v_add_f64_e32 v[0:1], v[4:5], v[0:1]
	v_mul_f64_e32 v[4:5], s[26:27], v[195:196]
	v_add_f64_e32 v[0:1], v[8:9], v[0:1]
	s_delay_alu instid0(VALU_DEP_2) | instskip(SKIP_1) | instid1(VALU_DEP_3)
	v_add_f64_e32 v[4:5], v[4:5], v[215:216]
	v_mul_f64_e32 v[8:9], s[30:31], v[203:204]
	v_add_f64_e32 v[0:1], v[12:13], v[0:1]
	s_delay_alu instid0(VALU_DEP_3) | instskip(NEXT) | instid1(VALU_DEP_3)
	v_add_f64_e32 v[2:3], v[4:5], v[2:3]
	v_add_f64_e32 v[8:9], v[8:9], v[227:228]
	s_delay_alu instid0(VALU_DEP_3)
	v_add_f64_e32 v[134:135], v[6:7], v[0:1]
	s_clause 0x1
	scratch_load_b32 v0, off, off offset:48 th:TH_LOAD_LU
	scratch_load_b32 v1, off, off offset:4
	v_add_f64_e32 v[132:133], v[8:9], v[2:3]
	s_wait_loadcnt 0x1
	v_and_b32_e32 v0, 0xffff, v0
	s_wait_loadcnt 0x0
	s_delay_alu instid0(VALU_DEP_1)
	v_lshl_add_u32 v0, v0, 4, v1
	ds_store_b128 v0, v[112:115] offset:32
	ds_store_b128 v0, v[116:119] offset:48
	;; [unrolled: 1-line block ×11, first 2 shown]
	ds_store_b128 v0, v[96:99]
	ds_store_b128 v0, v[148:151] offset:192
.LBB0_17:
	s_wait_alu 0xfffe
	s_or_b32 exec_lo, exec_lo, s1
	global_wb scope:SCOPE_SE
	s_wait_dscnt 0x0
	s_barrier_signal -1
	s_barrier_wait -1
	global_inv scope:SCOPE_SE
	ds_load_b128 v[100:103], v255
	ds_load_b128 v[96:99], v255 offset:1040
	ds_load_b128 v[120:123], v255 offset:2288
	;; [unrolled: 1-line block ×9, first 2 shown]
	s_and_saveexec_b32 s1, s0
	s_cbranch_execz .LBB0_19
; %bb.18:
	ds_load_b128 v[144:147], v255 offset:2080
	ds_load_b128 v[152:155], v255 offset:4368
	;; [unrolled: 1-line block ×4, first 2 shown]
	s_wait_dscnt 0x0
	scratch_store_b128 off, v[0:3], off offset:8 ; 16-byte Folded Spill
	ds_load_b128 v[0:3], v255 offset:11232
	s_wait_dscnt 0x0
	scratch_store_b128 off, v[0:3], off offset:24 ; 16-byte Folded Spill
.LBB0_19:
	s_wait_alu 0xfffe
	s_or_b32 exec_lo, exec_lo, s1
	s_clause 0x1
	scratch_load_b128 v[136:139], off, off offset:68 th:TH_LOAD_LU
	scratch_load_b128 v[67:70], off, off offset:52 th:TH_LOAD_LU
	s_wait_dscnt 0x7
	v_mul_f64_e32 v[0:1], v[42:43], v[122:123]
	s_wait_dscnt 0x5
	v_mul_f64_e32 v[2:3], v[34:35], v[126:127]
	s_wait_dscnt 0x3
	v_mul_f64_e32 v[4:5], v[38:39], v[130:131]
	s_wait_dscnt 0x1
	v_mul_f64_e32 v[8:9], v[30:31], v[134:135]
	v_mul_f64_e32 v[6:7], v[42:43], v[120:121]
	v_mul_f64_e32 v[10:11], v[34:35], v[124:125]
	;; [unrolled: 1-line block ×8, first 2 shown]
	s_mov_b32 s2, 0x134454ff
	s_mov_b32 s3, 0xbfee6f0e
	;; [unrolled: 1-line block ×3, first 2 shown]
	s_wait_alu 0xfffe
	s_mov_b32 s10, s2
	s_mov_b32 s16, 0x4755a5e
	;; [unrolled: 1-line block ×4, first 2 shown]
	s_wait_alu 0xfffe
	s_mov_b32 s14, s16
	s_mov_b32 s18, 0x372fe950
	;; [unrolled: 1-line block ×3, first 2 shown]
	global_wb scope:SCOPE_SE
	s_wait_storecnt 0x0
	s_wait_loadcnt_dscnt 0x0
	s_barrier_signal -1
	s_barrier_wait -1
	global_inv scope:SCOPE_SE
	v_fma_f64 v[0:1], v[40:41], v[120:121], v[0:1]
	v_fma_f64 v[2:3], v[32:33], v[124:125], v[2:3]
	;; [unrolled: 1-line block ×4, first 2 shown]
	v_fma_f64 v[6:7], v[40:41], v[122:123], -v[6:7]
	v_fma_f64 v[10:11], v[32:33], v[126:127], -v[10:11]
	;; [unrolled: 1-line block ×4, first 2 shown]
	v_fma_f64 v[20:21], v[24:25], v[112:113], v[20:21]
	v_fma_f64 v[22:23], v[44:45], v[106:107], -v[22:23]
	v_fma_f64 v[24:25], v[24:25], v[114:115], -v[26:27]
	v_fma_f64 v[16:17], v[44:45], v[104:105], v[16:17]
	v_add_f64_e32 v[64:65], v[100:101], v[0:1]
	v_add_f64_e32 v[32:33], v[2:3], v[4:5]
	;; [unrolled: 1-line block ×3, first 2 shown]
	v_add_f64_e64 v[120:121], v[6:7], -v[10:11]
	v_add_f64_e32 v[36:37], v[10:11], v[12:13]
	v_add_f64_e64 v[122:123], v[14:15], -v[12:13]
	v_add_f64_e64 v[124:125], v[12:13], -v[14:15]
	v_add_f64_e32 v[106:107], v[96:97], v[16:17]
	v_fma_f64 v[32:33], v[32:33], -0.5, v[100:101]
	v_fma_f64 v[36:37], v[36:37], -0.5, v[102:103]
	v_mul_f64_e32 v[34:35], v[138:139], v[108:109]
	v_mul_f64_e32 v[30:31], v[69:70], v[118:119]
	;; [unrolled: 1-line block ×4, first 2 shown]
	v_add_f64_e64 v[69:70], v[10:11], -v[12:13]
	s_delay_alu instid0(VALU_DEP_4)
	v_fma_f64 v[28:29], v[67:68], v[116:117], v[30:31]
	v_fma_f64 v[30:31], v[136:137], v[110:111], -v[34:35]
	v_fma_f64 v[26:27], v[67:68], v[118:119], -v[38:39]
	v_add_f64_e32 v[34:35], v[0:1], v[8:9]
	v_fma_f64 v[18:19], v[136:137], v[108:109], v[18:19]
	v_add_f64_e32 v[38:39], v[6:7], v[14:15]
	v_add_f64_e64 v[67:68], v[6:7], -v[14:15]
	v_add_f64_e32 v[108:109], v[98:99], v[22:23]
	v_add_f64_e64 v[110:111], v[0:1], -v[8:9]
	v_add_f64_e64 v[118:119], v[4:5], -v[8:9]
	;; [unrolled: 1-line block ×3, first 2 shown]
	v_add_f64_e32 v[10:11], v[104:105], v[10:11]
	v_add_f64_e64 v[116:117], v[8:9], -v[4:5]
	v_add_f64_e32 v[42:43], v[16:17], v[28:29]
	v_add_f64_e32 v[44:45], v[30:31], v[24:25]
	;; [unrolled: 1-line block ×3, first 2 shown]
	v_fma_f64 v[34:35], v[34:35], -0.5, v[100:101]
	v_add_f64_e32 v[40:41], v[18:19], v[20:21]
	v_add_f64_e64 v[100:101], v[2:3], -v[4:5]
	v_add_f64_e64 v[112:113], v[22:23], -v[26:27]
	v_fma_f64 v[38:39], v[38:39], -0.5, v[102:103]
	v_add_f64_e64 v[102:103], v[30:31], -v[24:25]
	v_add_f64_e64 v[132:133], v[22:23], -v[30:31]
	;; [unrolled: 1-line block ×3, first 2 shown]
	v_add_f64_e32 v[30:31], v[108:109], v[30:31]
	v_add_f64_e64 v[114:115], v[16:17], -v[28:29]
	v_add_f64_e64 v[126:127], v[16:17], -v[18:19]
	;; [unrolled: 1-line block ×6, first 2 shown]
	v_add_f64_e32 v[6:7], v[6:7], v[124:125]
	v_add_f64_e64 v[128:129], v[28:29], -v[20:21]
	v_fma_f64 v[42:43], v[42:43], -0.5, v[96:97]
	v_fma_f64 v[44:45], v[44:45], -0.5, v[98:99]
	;; [unrolled: 1-line block ×3, first 2 shown]
	v_add_f64_e64 v[98:99], v[0:1], -v[2:3]
	v_add_f64_e64 v[0:1], v[2:3], -v[0:1]
	v_add_f64_e32 v[2:3], v[64:65], v[2:3]
	v_fma_f64 v[64:65], v[67:68], s[2:3], v[32:33]
	v_fma_f64 v[32:33], v[67:68], s[10:11], v[32:33]
	;; [unrolled: 1-line block ×4, first 2 shown]
	v_fma_f64 v[40:41], v[40:41], -0.5, v[96:97]
	v_add_f64_e64 v[96:97], v[18:19], -v[20:21]
	v_add_f64_e32 v[18:19], v[106:107], v[18:19]
	v_fma_f64 v[106:107], v[110:111], s[10:11], v[36:37]
	v_fma_f64 v[36:37], v[110:111], s[2:3], v[36:37]
	;; [unrolled: 1-line block ×4, first 2 shown]
	v_add_f64_e32 v[124:125], v[22:23], v[136:137]
	v_fma_f64 v[140:141], v[102:103], s[10:11], v[42:43]
	v_fma_f64 v[42:43], v[102:103], s[2:3], v[42:43]
	;; [unrolled: 1-line block ×3, first 2 shown]
	v_add_f64_e32 v[98:99], v[98:99], v[116:117]
	v_add_f64_e32 v[0:1], v[0:1], v[118:119]
	;; [unrolled: 1-line block ×5, first 2 shown]
	s_wait_alu 0xfffe
	v_fma_f64 v[30:31], v[69:70], s[14:15], v[32:33]
	v_fma_f64 v[32:33], v[67:68], s[16:17], v[104:105]
	v_fma_f64 v[34:35], v[67:68], s[14:15], v[34:35]
	v_add_f64_e32 v[116:117], v[120:121], v[122:123]
	v_fma_f64 v[24:25], v[69:70], s[16:17], v[64:65]
	v_fma_f64 v[64:65], v[100:101], s[14:15], v[106:107]
	;; [unrolled: 1-line block ×5, first 2 shown]
	v_add_f64_e32 v[10:11], v[18:19], v[20:21]
	v_add_f64_e32 v[120:121], v[16:17], v[130:131]
	v_fma_f64 v[138:139], v[112:113], s[2:3], v[40:41]
	v_fma_f64 v[156:157], v[96:97], s[2:3], v[46:47]
	;; [unrolled: 1-line block ×5, first 2 shown]
	v_add_f64_e32 v[118:119], v[126:127], v[128:129]
	v_add_f64_e32 v[122:123], v[132:133], v[134:135]
	v_fma_f64 v[104:105], v[112:113], s[16:17], v[140:141]
	v_fma_f64 v[42:43], v[112:113], s[14:15], v[42:43]
	;; [unrolled: 1-line block ×3, first 2 shown]
	v_add_f64_e32 v[16:17], v[2:3], v[8:9]
	v_add_f64_e32 v[18:19], v[4:5], v[14:15]
	;; [unrolled: 1-line block ×3, first 2 shown]
	v_fma_f64 v[32:33], v[0:1], s[18:19], v[32:33]
	v_fma_f64 v[36:37], v[0:1], s[18:19], v[34:35]
	scratch_load_b32 v0, off, off offset:92 th:TH_LOAD_LU ; 4-byte Folded Reload
	v_fma_f64 v[24:25], v[98:99], s[18:19], v[24:25]
	v_fma_f64 v[26:27], v[116:117], s[18:19], v[64:65]
	;; [unrolled: 1-line block ×4, first 2 shown]
	v_add_f64_e32 v[20:21], v[10:11], v[28:29]
	v_fma_f64 v[28:29], v[98:99], s[18:19], v[30:31]
	v_fma_f64 v[30:31], v[116:117], s[18:19], v[67:68]
	;; [unrolled: 1-line block ×7, first 2 shown]
	s_wait_loadcnt 0x0
	ds_store_b128 v0, v[16:19]
	ds_store_b128 v0, v[24:27] offset:208
	ds_store_b128 v0, v[32:35] offset:416
	;; [unrolled: 1-line block ×4, first 2 shown]
	scratch_load_b32 v0, off, off offset:88 th:TH_LOAD_LU ; 4-byte Folded Reload
	v_fma_f64 v[40:41], v[118:119], s[18:19], v[100:101]
	v_fma_f64 v[100:101], v[120:121], s[18:19], v[42:43]
	;; [unrolled: 1-line block ×8, first 2 shown]
	s_wait_loadcnt 0x0
	ds_store_b128 v0, v[20:23]
	ds_store_b128 v0, v[40:43] offset:208
	ds_store_b128 v0, v[96:99] offset:416
	;; [unrolled: 1-line block ×4, first 2 shown]
	s_and_saveexec_b32 s1, s0
	s_cbranch_execz .LBB0_21
; %bb.20:
	s_clause 0x5
	scratch_load_b128 v[20:23], off, off offset:112 th:TH_LOAD_LU
	scratch_load_b128 v[28:31], off, off offset:144 th:TH_LOAD_LU
	;; [unrolled: 1-line block ×6, first 2 shown]
	s_wait_loadcnt 0x5
	v_mul_f64_e32 v[0:1], v[22:23], v[148:149]
	s_wait_loadcnt 0x4
	v_mul_f64_e32 v[2:3], v[30:31], v[152:153]
	;; [unrolled: 2-line block ×4, first 2 shown]
	v_mul_f64_e32 v[8:9], v[22:23], v[150:151]
	v_mul_f64_e32 v[10:11], v[18:19], v[34:35]
	;; [unrolled: 1-line block ×4, first 2 shown]
	v_fma_f64 v[0:1], v[20:21], v[150:151], -v[0:1]
	v_fma_f64 v[2:3], v[28:29], v[154:155], -v[2:3]
	;; [unrolled: 1-line block ×4, first 2 shown]
	v_fma_f64 v[8:9], v[20:21], v[148:149], v[8:9]
	v_fma_f64 v[10:11], v[16:17], v[32:33], v[10:11]
	;; [unrolled: 1-line block ×4, first 2 shown]
	v_add_f64_e32 v[28:29], v[146:147], v[2:3]
	v_add_f64_e32 v[16:17], v[2:3], v[4:5]
	;; [unrolled: 1-line block ×3, first 2 shown]
	v_add_f64_e64 v[32:33], v[2:3], -v[4:5]
	v_add_f64_e32 v[20:21], v[8:9], v[10:11]
	v_add_f64_e64 v[24:25], v[8:9], -v[10:11]
	v_add_f64_e64 v[26:27], v[12:13], -v[14:15]
	v_add_f64_e32 v[30:31], v[144:145], v[12:13]
	v_add_f64_e32 v[22:23], v[12:13], v[14:15]
	v_add_f64_e64 v[34:35], v[0:1], -v[6:7]
	v_add_f64_e64 v[36:37], v[0:1], -v[2:3]
	;; [unrolled: 1-line block ×9, first 2 shown]
	v_add_f64_e32 v[0:1], v[28:29], v[0:1]
	v_fma_f64 v[16:17], v[16:17], -0.5, v[146:147]
	v_fma_f64 v[18:19], v[18:19], -0.5, v[146:147]
	;; [unrolled: 1-line block ×3, first 2 shown]
	v_add_f64_e32 v[8:9], v[30:31], v[8:9]
	v_fma_f64 v[22:23], v[22:23], -0.5, v[144:145]
	v_add_f64_e32 v[36:37], v[36:37], v[38:39]
	v_add_f64_e32 v[38:39], v[2:3], v[40:41]
	;; [unrolled: 1-line block ×5, first 2 shown]
	v_fma_f64 v[28:29], v[24:25], s[10:11], v[16:17]
	v_fma_f64 v[16:17], v[24:25], s[2:3], v[16:17]
	;; [unrolled: 1-line block ×6, first 2 shown]
	v_add_f64_e32 v[6:7], v[8:9], v[10:11]
	v_fma_f64 v[67:68], v[34:35], s[10:11], v[22:23]
	v_fma_f64 v[22:23], v[34:35], s[2:3], v[22:23]
	v_add_f64_e32 v[2:3], v[0:1], v[4:5]
	v_fma_f64 v[8:9], v[26:27], s[16:17], v[28:29]
	v_fma_f64 v[10:11], v[26:27], s[14:15], v[16:17]
	;; [unrolled: 1-line block ×6, first 2 shown]
	v_add_f64_e32 v[0:1], v[6:7], v[14:15]
	v_fma_f64 v[26:27], v[32:33], s[16:17], v[67:68]
	v_fma_f64 v[22:23], v[32:33], s[14:15], v[22:23]
	;; [unrolled: 1-line block ×8, first 2 shown]
	s_clause 0x1
	scratch_load_b32 v20, off, off offset:4 th:TH_LOAD_LU
	scratch_load_b32 v21, off, off offset:84 th:TH_LOAD_LU
	v_fma_f64 v[8:9], v[40:41], s[18:19], v[26:27]
	v_fma_f64 v[4:5], v[40:41], s[18:19], v[22:23]
	s_wait_loadcnt 0x0
	v_lshl_add_u32 v20, v21, 4, v20
	ds_store_b128 v20, v[0:3] offset:10400
	ds_store_b128 v20, v[16:19] offset:10608
	;; [unrolled: 1-line block ×5, first 2 shown]
.LBB0_21:
	s_wait_alu 0xfffe
	s_or_b32 exec_lo, exec_lo, s1
	global_wb scope:SCOPE_SE
	s_wait_dscnt 0x0
	s_barrier_signal -1
	s_barrier_wait -1
	global_inv scope:SCOPE_SE
	ds_load_b128 v[0:3], v255 offset:1040
	ds_load_b128 v[8:11], v255 offset:10400
	;; [unrolled: 1-line block ×10, first 2 shown]
	s_mov_b32 s0, 0xf8bb580b
	s_mov_b32 s2, 0x8764f0ba
	;; [unrolled: 1-line block ×14, first 2 shown]
	s_wait_dscnt 0x8
	v_mul_f64_e32 v[44:45], v[50:51], v[8:9]
	s_wait_dscnt 0x7
	v_mul_f64_e32 v[46:47], v[62:63], v[12:13]
	v_mul_f64_e32 v[4:5], v[58:59], v[2:3]
	;; [unrolled: 1-line block ×3, first 2 shown]
	s_wait_dscnt 0x6
	v_mul_f64_e32 v[58:59], v[54:55], v[16:17]
	v_mul_f64_e32 v[62:63], v[62:63], v[14:15]
	s_wait_dscnt 0x5
	v_mul_f64_e32 v[67:68], v[78:79], v[20:21]
	s_wait_dscnt 0x4
	v_mul_f64_e32 v[69:70], v[86:87], v[24:25]
	v_mul_f64_e32 v[50:51], v[50:51], v[10:11]
	;; [unrolled: 1-line block ×5, first 2 shown]
	s_wait_dscnt 0x1
	v_mul_f64_e32 v[98:99], v[82:83], v[38:39]
	v_mul_f64_e32 v[96:97], v[74:75], v[30:31]
	v_mul_f64_e32 v[74:75], v[74:75], v[28:29]
	v_mul_f64_e32 v[82:83], v[82:83], v[36:37]
	v_mul_f64_e32 v[100:101], v[94:95], v[34:35]
	v_mul_f64_e32 v[94:95], v[94:95], v[32:33]
	s_mov_b32 s27, 0xbfe82f19
	s_mov_b32 s29, 0xbfe4f49e
	;; [unrolled: 1-line block ×8, first 2 shown]
	s_wait_alu 0xfffe
	s_mov_b32 s10, s0
	s_mov_b32 s18, s14
	;; [unrolled: 1-line block ×8, first 2 shown]
	v_fma_f64 v[64:65], v[56:57], v[0:1], v[4:5]
	v_fma_f64 v[56:57], v[56:57], v[2:3], -v[6:7]
	ds_load_b128 v[0:3], v255
	s_wait_dscnt 0x1
	v_mul_f64_e32 v[102:103], v[90:91], v[42:43]
	v_mul_f64_e32 v[90:91], v[90:91], v[40:41]
	v_fma_f64 v[4:5], v[48:49], v[10:11], -v[44:45]
	v_fma_f64 v[44:45], v[60:61], v[14:15], -v[46:47]
	;; [unrolled: 1-line block ×3, first 2 shown]
	v_fma_f64 v[18:19], v[60:61], v[12:13], v[62:63]
	v_fma_f64 v[22:23], v[76:77], v[22:23], -v[67:68]
	v_fma_f64 v[12:13], v[84:85], v[26:27], -v[69:70]
	v_fma_f64 v[8:9], v[48:49], v[8:9], v[50:51]
	v_fma_f64 v[20:21], v[76:77], v[20:21], v[78:79]
	;; [unrolled: 1-line block ×6, first 2 shown]
	v_fma_f64 v[24:25], v[72:73], v[30:31], -v[74:75]
	v_fma_f64 v[28:29], v[80:81], v[38:39], -v[82:83]
	v_fma_f64 v[30:31], v[92:93], v[32:33], v[100:101]
	v_fma_f64 v[32:33], v[92:93], v[34:35], -v[94:95]
	s_wait_dscnt 0x0
	v_add_f64_e32 v[46:47], v[0:1], v[64:65]
	v_add_f64_e32 v[58:59], v[2:3], v[56:57]
	v_fma_f64 v[34:35], v[88:89], v[40:41], v[102:103]
	v_fma_f64 v[36:37], v[88:89], v[42:43], -v[90:91]
	v_add_f64_e64 v[38:39], v[56:57], -v[4:5]
	v_add_f64_e32 v[40:41], v[56:57], v[4:5]
	v_add_f64_e64 v[42:43], v[44:45], -v[6:7]
	v_add_f64_e32 v[48:49], v[44:45], v[6:7]
	;; [unrolled: 2-line block ×3, first 2 shown]
	v_add_f64_e32 v[54:55], v[64:65], v[8:9]
	v_add_f64_e32 v[60:61], v[20:21], v[14:15]
	v_add_f64_e64 v[62:63], v[20:21], -v[14:15]
	v_add_f64_e64 v[56:57], v[64:65], -v[8:9]
	v_add_f64_e32 v[64:65], v[16:17], v[26:27]
	v_add_f64_e64 v[71:72], v[16:17], -v[26:27]
	v_add_f64_e32 v[67:68], v[24:25], v[28:29]
	;; [unrolled: 2-line block ×3, first 2 shown]
	v_add_f64_e32 v[44:45], v[58:59], v[44:45]
	v_add_f64_e32 v[58:59], v[18:19], v[10:11]
	v_add_f64_e64 v[18:19], v[18:19], -v[10:11]
	v_add_f64_e32 v[75:76], v[32:33], v[36:37]
	v_mul_f64_e32 v[81:82], s[0:1], v[38:39]
	v_mul_f64_e32 v[83:84], s[2:3], v[40:41]
	;; [unrolled: 1-line block ×14, first 2 shown]
	s_wait_alu 0xfffe
	v_mul_f64_e32 v[105:106], s[24:25], v[42:43]
	v_mul_f64_e32 v[107:108], s[22:23], v[48:49]
	;; [unrolled: 1-line block ×10, first 2 shown]
	v_add_f64_e32 v[73:74], v[30:31], v[34:35]
	v_add_f64_e64 v[77:78], v[30:31], -v[34:35]
	v_add_f64_e64 v[79:80], v[32:33], -v[36:37]
	v_mul_f64_e32 v[50:51], s[26:27], v[50:51]
	v_mul_f64_e32 v[52:53], s[28:29], v[52:53]
	;; [unrolled: 1-line block ×6, first 2 shown]
	v_add_f64_e32 v[20:21], v[46:47], v[20:21]
	v_add_f64_e32 v[22:23], v[44:45], v[22:23]
	v_mul_f64_e32 v[44:45], s[28:29], v[48:49]
	v_mul_f64_e32 v[46:47], s[38:39], v[42:43]
	v_mul_f64_e32 v[143:144], s[36:37], v[75:76]
	v_mul_f64_e32 v[147:148], s[2:3], v[75:76]
	v_mul_f64_e32 v[151:152], s[28:29], v[75:76]
	v_mul_f64_e32 v[155:156], s[16:17], v[75:76]
	v_fma_f64 v[157:158], v[54:55], s[16:17], v[85:86]
	v_fma_f64 v[161:162], v[56:57], s[18:19], v[87:88]
	v_fma_f64 v[85:86], v[54:55], s[16:17], -v[85:86]
	v_fma_f64 v[163:164], v[54:55], s[22:23], v[89:90]
	v_fma_f64 v[165:166], v[56:57], s[24:25], v[91:92]
	v_fma_f64 v[89:90], v[54:55], s[22:23], -v[89:90]
	v_fma_f64 v[167:168], v[54:55], s[28:29], v[93:94]
	v_fma_f64 v[169:170], v[56:57], s[30:31], v[95:96]
	v_mul_f64_e32 v[42:43], s[10:11], v[42:43]
	v_mul_f64_e32 v[48:49], s[2:3], v[48:49]
	v_fma_f64 v[93:94], v[54:55], s[28:29], -v[93:94]
	v_fma_f64 v[171:172], v[54:55], s[36:37], v[38:39]
	v_fma_f64 v[173:174], v[56:57], s[38:39], v[40:41]
	v_fma_f64 v[38:39], v[54:55], s[36:37], -v[38:39]
	v_fma_f64 v[40:41], v[56:57], s[34:35], v[40:41]
	v_fma_f64 v[95:96], v[56:57], s[26:27], v[95:96]
	;; [unrolled: 1-line block ×5, first 2 shown]
	v_fma_f64 v[101:102], v[58:59], s[28:29], -v[101:102]
	v_fma_f64 v[181:182], v[18:19], s[34:35], v[103:104]
	v_fma_f64 v[183:184], v[58:59], s[22:23], v[105:106]
	;; [unrolled: 1-line block ×3, first 2 shown]
	v_fma_f64 v[105:106], v[58:59], s[22:23], -v[105:106]
	v_fma_f64 v[103:104], v[18:19], s[38:39], v[103:104]
	v_fma_f64 v[187:188], v[60:61], s[36:37], v[113:114]
	;; [unrolled: 1-line block ×3, first 2 shown]
	v_mul_f64_e32 v[133:134], s[0:1], v[69:70]
	v_mul_f64_e32 v[135:136], s[2:3], v[67:68]
	v_fma_f64 v[191:192], v[60:61], s[16:17], v[117:118]
	v_add_f64_e32 v[16:17], v[20:21], v[16:17]
	v_add_f64_e32 v[20:21], v[22:23], v[24:25]
	v_mul_f64_e32 v[22:23], s[22:23], v[75:76]
	v_fma_f64 v[24:25], v[54:55], s[2:3], v[81:82]
	v_fma_f64 v[75:76], v[56:57], s[10:11], v[83:84]
	v_fma_f64 v[81:82], v[54:55], s[2:3], -v[81:82]
	v_fma_f64 v[83:84], v[56:57], s[0:1], v[83:84]
	v_fma_f64 v[54:55], v[58:59], s[16:17], v[97:98]
	;; [unrolled: 1-line block ×3, first 2 shown]
	v_fma_f64 v[97:98], v[58:59], s[16:17], -v[97:98]
	v_fma_f64 v[99:100], v[18:19], s[14:15], v[99:100]
	v_fma_f64 v[177:178], v[18:19], s[30:31], v[44:45]
	v_add_f64_e32 v[157:158], v[0:1], v[157:158]
	v_add_f64_e32 v[161:162], v[2:3], v[161:162]
	v_fma_f64 v[179:180], v[58:59], s[36:37], v[46:47]
	v_add_f64_e32 v[85:86], v[0:1], v[85:86]
	v_add_f64_e32 v[163:164], v[0:1], v[163:164]
	v_add_f64_e32 v[165:166], v[2:3], v[165:166]
	v_fma_f64 v[46:47], v[58:59], s[36:37], -v[46:47]
	v_add_f64_e32 v[89:90], v[0:1], v[89:90]
	v_add_f64_e32 v[167:168], v[0:1], v[167:168]
	;; [unrolled: 1-line block ×6, first 2 shown]
	v_fma_f64 v[44:45], v[18:19], s[26:27], v[44:45]
	v_add_f64_e32 v[91:92], v[2:3], v[91:92]
	v_add_f64_e32 v[87:88], v[2:3], v[87:88]
	v_fma_f64 v[193:194], v[62:63], s[14:15], v[119:120]
	v_mul_f64_e32 v[137:138], s[34:35], v[69:70]
	v_mul_f64_e32 v[139:140], s[36:37], v[67:68]
	;; [unrolled: 1-line block ×4, first 2 shown]
	v_fma_f64 v[117:118], v[60:61], s[16:17], -v[117:118]
	v_fma_f64 v[119:120], v[62:63], s[18:19], v[119:120]
	v_fma_f64 v[113:114], v[60:61], s[36:37], -v[113:114]
	v_fma_f64 v[115:116], v[62:63], s[38:39], v[115:116]
	v_mul_f64_e32 v[145:146], s[10:11], v[79:80]
	v_add_f64_e32 v[16:17], v[16:17], v[30:31]
	v_add_f64_e32 v[20:21], v[20:21], v[32:33]
	v_fma_f64 v[30:31], v[18:19], s[24:25], v[107:108]
	v_add_f64_e32 v[24:25], v[0:1], v[24:25]
	v_fma_f64 v[32:33], v[58:59], s[2:3], v[42:43]
	v_add_f64_e32 v[81:82], v[0:1], v[81:82]
	v_add_f64_e32 v[83:84], v[2:3], v[83:84]
	v_fma_f64 v[107:108], v[18:19], s[0:1], v[48:49]
	v_fma_f64 v[42:43], v[58:59], s[2:3], -v[42:43]
	v_fma_f64 v[18:19], v[18:19], s[10:11], v[48:49]
	v_add_f64_e32 v[0:1], v[0:1], v[38:39]
	v_add_f64_e32 v[38:39], v[2:3], v[40:41]
	;; [unrolled: 1-line block ×4, first 2 shown]
	v_fma_f64 v[48:49], v[60:61], s[22:23], v[109:110]
	v_fma_f64 v[58:59], v[62:63], s[24:25], v[111:112]
	v_fma_f64 v[109:110], v[60:61], s[22:23], -v[109:110]
	v_fma_f64 v[111:112], v[62:63], s[20:21], v[111:112]
	v_add_f64_e32 v[85:86], v[101:102], v[85:86]
	v_add_f64_e32 v[101:102], v[181:182], v[165:166]
	;; [unrolled: 1-line block ×4, first 2 shown]
	v_fma_f64 v[75:76], v[60:61], s[2:3], -v[121:122]
	v_fma_f64 v[95:96], v[62:63], s[0:1], v[123:124]
	v_add_f64_e32 v[93:94], v[105:106], v[93:94]
	v_fma_f64 v[195:196], v[64:65], s[22:23], v[129:130]
	v_fma_f64 v[197:198], v[71:72], s[20:21], v[131:132]
	v_mul_f64_e32 v[141:142], s[34:35], v[79:80]
	v_mul_f64_e32 v[149:150], s[26:27], v[79:80]
	;; [unrolled: 1-line block ×4, first 2 shown]
	v_fma_f64 v[129:130], v[64:65], s[22:23], -v[129:130]
	v_fma_f64 v[131:132], v[71:72], s[24:25], v[131:132]
	v_add_f64_e32 v[16:17], v[16:17], v[34:35]
	v_add_f64_e32 v[20:21], v[20:21], v[36:37]
	v_fma_f64 v[34:35], v[60:61], s[2:3], v[121:122]
	v_add_f64_e32 v[24:25], v[54:55], v[24:25]
	v_fma_f64 v[36:37], v[62:63], s[10:11], v[123:124]
	v_add_f64_e32 v[54:55], v[97:98], v[81:82]
	v_add_f64_e32 v[81:82], v[99:100], v[83:84]
	;; [unrolled: 1-line block ×6, first 2 shown]
	v_fma_f64 v[121:122], v[60:61], s[28:29], v[50:51]
	v_fma_f64 v[123:124], v[62:63], s[30:31], v[52:53]
	v_add_f64_e32 v[32:33], v[32:33], v[171:172]
	v_add_f64_e32 v[105:106], v[107:108], v[173:174]
	v_fma_f64 v[50:51], v[60:61], s[28:29], -v[50:51]
	v_fma_f64 v[52:53], v[62:63], s[26:27], v[52:53]
	v_add_f64_e32 v[0:1], v[42:43], v[0:1]
	v_add_f64_e32 v[18:19], v[18:19], v[38:39]
	;; [unrolled: 1-line block ×6, first 2 shown]
	v_fma_f64 v[60:61], v[64:65], s[28:29], v[125:126]
	v_fma_f64 v[62:63], v[71:72], s[30:31], v[127:128]
	v_fma_f64 v[125:126], v[64:65], s[28:29], -v[125:126]
	v_fma_f64 v[127:128], v[71:72], s[26:27], v[127:128]
	v_fma_f64 v[56:57], v[64:65], s[36:37], v[137:138]
	;; [unrolled: 1-line block ×3, first 2 shown]
	v_fma_f64 v[42:43], v[64:65], s[2:3], -v[133:134]
	v_fma_f64 v[91:92], v[64:65], s[36:37], -v[137:138]
	v_fma_f64 v[107:108], v[64:65], s[16:17], v[69:70]
	v_add_f64_e32 v[46:47], v[117:118], v[46:47]
	v_add_f64_e32 v[75:76], v[75:76], v[93:94]
	v_fma_f64 v[103:104], v[71:72], s[34:35], v[139:140]
	v_fma_f64 v[44:45], v[71:72], s[0:1], v[135:136]
	v_add_f64_e32 v[85:86], v[113:114], v[85:86]
	v_fma_f64 v[137:138], v[77:78], s[34:35], v[143:144]
	v_add_f64_e32 v[16:17], v[16:17], v[26:27]
	v_add_f64_e32 v[20:21], v[20:21], v[28:29]
	v_fma_f64 v[26:27], v[64:65], s[2:3], v[133:134]
	v_add_f64_e32 v[24:25], v[48:49], v[24:25]
	v_fma_f64 v[28:29], v[71:72], s[10:11], v[135:136]
	v_add_f64_e32 v[48:49], v[109:110], v[54:55]
	v_add_f64_e32 v[54:55], v[111:112], v[81:82]
	;; [unrolled: 1-line block ×8, first 2 shown]
	v_fma_f64 v[133:134], v[71:72], s[14:15], v[67:68]
	v_add_f64_e32 v[32:33], v[121:122], v[32:33]
	v_add_f64_e32 v[89:90], v[123:124], v[105:106]
	v_fma_f64 v[64:65], v[64:65], s[16:17], -v[69:70]
	v_fma_f64 v[67:68], v[71:72], s[18:19], v[67:68]
	v_add_f64_e32 v[0:1], v[50:51], v[0:1]
	v_add_f64_e32 v[18:19], v[52:53], v[18:19]
	;; [unrolled: 1-line block ×6, first 2 shown]
	v_fma_f64 v[71:72], v[77:78], s[38:39], v[143:144]
	v_fma_f64 v[52:53], v[77:78], s[10:11], v[147:148]
	;; [unrolled: 1-line block ×8, first 2 shown]
	v_fma_f64 v[135:136], v[73:74], s[36:37], -v[141:142]
	v_fma_f64 v[58:59], v[73:74], s[28:29], v[149:150]
	v_fma_f64 v[105:106], v[73:74], s[16:17], v[153:154]
	;; [unrolled: 1-line block ×3, first 2 shown]
	v_add_f64_e32 v[42:43], v[42:43], v[46:47]
	v_add_f64_e32 v[46:47], v[91:92], v[75:76]
	;; [unrolled: 1-line block ×4, first 2 shown]
	v_fma_f64 v[16:17], v[73:74], s[2:3], v[145:146]
	v_fma_f64 v[20:21], v[77:78], s[0:1], v[147:148]
	;; [unrolled: 1-line block ×3, first 2 shown]
	v_add_f64_e32 v[22:23], v[60:61], v[24:25]
	v_add_f64_e32 v[24:25], v[125:126], v[48:49]
	;; [unrolled: 1-line block ×11, first 2 shown]
	v_fma_f64 v[50:51], v[73:74], s[2:3], -v[145:146]
	v_fma_f64 v[95:96], v[73:74], s[28:29], -v[149:150]
	;; [unrolled: 1-line block ×4, first 2 shown]
	v_add_f64_e32 v[64:65], v[64:65], v[0:1]
	v_add_f64_e32 v[67:68], v[67:68], v[18:19]
	;; [unrolled: 1-line block ×7, first 2 shown]
	s_and_b32 s0, exec_lo, vcc_lo
	v_add_f64_e32 v[87:88], v[14:15], v[10:11]
	v_add_f64_e32 v[89:90], v[12:13], v[6:7]
	;; [unrolled: 1-line block ×24, first 2 shown]
	ds_store_b128 v66, v[14:17] offset:2080
	ds_store_b128 v66, v[22:25] offset:3120
	;; [unrolled: 1-line block ×9, first 2 shown]
	ds_store_b128 v66, v[6:9]
	ds_store_b128 v66, v[0:3] offset:1040
	global_wb scope:SCOPE_SE
	s_wait_dscnt 0x0
	s_barrier_signal -1
	s_barrier_wait -1
	global_inv scope:SCOPE_SE
	scratch_load_b64 v[49:50], off, off offset:40 ; 8-byte Folded Reload
	s_wait_alu 0xfffe
	s_mov_b32 exec_lo, s0
	s_cbranch_execz .LBB0_23
; %bb.22:
	scratch_load_b32 v57, off, off th:TH_LOAD_LU ; 4-byte Folded Reload
	s_wait_loadcnt 0x1
	v_mad_co_u64_u32 v[64:65], null, s6, v49, 0
	s_mul_u64 s[0:1], s[4:5], 0x370
	s_mov_b32 s2, 0xd118b474
	s_mov_b32 s3, 0x3f56ea28
	s_delay_alu instid0(VALU_DEP_1) | instskip(NEXT) | instid1(VALU_DEP_1)
	v_mov_b32_e32 v48, v65
	v_mad_co_u64_u32 v[67:68], null, s7, v49, v[48:49]
	s_delay_alu instid0(VALU_DEP_1) | instskip(NEXT) | instid1(VALU_DEP_1)
	v_mov_b32_e32 v65, v67
	v_lshlrev_b64_e32 v[64:65], 4, v[64:65]
	s_delay_alu instid0(VALU_DEP_1) | instskip(NEXT) | instid1(VALU_DEP_2)
	v_add_co_u32 v123, vcc_lo, s12, v64
	v_add_co_ci_u32_e32 v124, vcc_lo, s13, v65, vcc_lo
	s_wait_loadcnt 0x0
	v_lshlrev_b32_e32 v127, 4, v57
	s_clause 0xb
	global_load_b128 v[0:3], v127, s[8:9]
	global_load_b128 v[4:7], v127, s[8:9] offset:880
	global_load_b128 v[8:11], v127, s[8:9] offset:1760
	;; [unrolled: 1-line block ×11, first 2 shown]
	v_mad_co_u64_u32 v[99:100], null, s4, v57, 0
	ds_load_b128 v[48:51], v66
	ds_load_b128 v[52:55], v66 offset:880
	v_mov_b32_e32 v56, v100
	s_delay_alu instid0(VALU_DEP_1)
	v_mad_co_u64_u32 v[83:84], null, s5, v57, v[56:57]
	ds_load_b128 v[56:59], v66 offset:1760
	ds_load_b128 v[60:63], v66 offset:2640
	;; [unrolled: 1-line block ×6, first 2 shown]
	v_mov_b32_e32 v100, v83
	ds_load_b128 v[83:86], v66 offset:7040
	ds_load_b128 v[87:90], v66 offset:7920
	;; [unrolled: 1-line block ×4, first 2 shown]
	v_lshlrev_b64_e32 v[99:100], 4, v[99:100]
	s_delay_alu instid0(VALU_DEP_1) | instskip(SKIP_1) | instid1(VALU_DEP_2)
	v_add_co_u32 v99, vcc_lo, v123, v99
	s_wait_alu 0xfffd
	v_add_co_ci_u32_e32 v100, vcc_lo, v124, v100, vcc_lo
	s_wait_alu 0xfffe
	s_delay_alu instid0(VALU_DEP_2) | instskip(SKIP_1) | instid1(VALU_DEP_2)
	v_add_co_u32 v123, vcc_lo, v99, s0
	s_wait_alu 0xfffd
	v_add_co_ci_u32_e32 v124, vcc_lo, s1, v100, vcc_lo
	s_delay_alu instid0(VALU_DEP_2) | instskip(SKIP_1) | instid1(VALU_DEP_2)
	v_add_co_u32 v125, vcc_lo, v123, s0
	s_wait_alu 0xfffd
	v_add_co_ci_u32_e32 v126, vcc_lo, s1, v124, vcc_lo
	s_wait_loadcnt_dscnt 0xb0b
	v_mul_f64_e32 v[64:65], v[50:51], v[2:3]
	v_mul_f64_e32 v[2:3], v[48:49], v[2:3]
	s_wait_loadcnt_dscnt 0xa0a
	v_mul_f64_e32 v[101:102], v[54:55], v[6:7]
	v_mul_f64_e32 v[6:7], v[52:53], v[6:7]
	;; [unrolled: 3-line block ×12, first 2 shown]
	v_fma_f64 v[48:49], v[48:49], v[0:1], v[64:65]
	v_fma_f64 v[2:3], v[0:1], v[50:51], -v[2:3]
	v_fma_f64 v[50:51], v[52:53], v[4:5], v[101:102]
	v_fma_f64 v[6:7], v[4:5], v[54:55], -v[6:7]
	;; [unrolled: 2-line block ×12, first 2 shown]
	v_add_co_u32 v73, vcc_lo, v125, s0
	s_wait_alu 0xfffd
	v_add_co_ci_u32_e32 v74, vcc_lo, s1, v126, vcc_lo
	s_delay_alu instid0(VALU_DEP_2) | instskip(SKIP_1) | instid1(VALU_DEP_2)
	v_add_co_u32 v75, vcc_lo, v73, s0
	s_wait_alu 0xfffd
	v_add_co_ci_u32_e32 v76, vcc_lo, s1, v74, vcc_lo
	s_delay_alu instid0(VALU_DEP_2) | instskip(SKIP_1) | instid1(VALU_DEP_2)
	v_add_co_u32 v77, vcc_lo, v75, s0
	s_wait_alu 0xfffd
	v_add_co_ci_u32_e32 v78, vcc_lo, s1, v76, vcc_lo
	v_mul_f64_e32 v[0:1], s[2:3], v[48:49]
	v_mul_f64_e32 v[2:3], s[2:3], v[2:3]
	v_mul_f64_e32 v[4:5], s[2:3], v[50:51]
	v_mul_f64_e32 v[6:7], s[2:3], v[6:7]
	v_mul_f64_e32 v[8:9], s[2:3], v[52:53]
	v_mul_f64_e32 v[10:11], s[2:3], v[10:11]
	v_mul_f64_e32 v[12:13], s[2:3], v[54:55]
	v_mul_f64_e32 v[14:15], s[2:3], v[14:15]
	v_mul_f64_e32 v[16:17], s[2:3], v[56:57]
	v_mul_f64_e32 v[18:19], s[2:3], v[18:19]
	v_mul_f64_e32 v[20:21], s[2:3], v[58:59]
	v_mul_f64_e32 v[22:23], s[2:3], v[22:23]
	v_mul_f64_e32 v[24:25], s[2:3], v[60:61]
	v_mul_f64_e32 v[26:27], s[2:3], v[26:27]
	v_mul_f64_e32 v[28:29], s[2:3], v[62:63]
	v_mul_f64_e32 v[30:31], s[2:3], v[30:31]
	v_mul_f64_e32 v[32:33], s[2:3], v[64:65]
	v_mul_f64_e32 v[34:35], s[2:3], v[34:35]
	v_mul_f64_e32 v[36:37], s[2:3], v[67:68]
	v_mul_f64_e32 v[38:39], s[2:3], v[38:39]
	v_mul_f64_e32 v[40:41], s[2:3], v[69:70]
	v_mul_f64_e32 v[42:43], s[2:3], v[42:43]
	v_mul_f64_e32 v[44:45], s[2:3], v[71:72]
	v_mul_f64_e32 v[46:47], s[2:3], v[46:47]
	v_add_co_u32 v48, vcc_lo, v77, s0
	s_wait_alu 0xfffd
	v_add_co_ci_u32_e32 v49, vcc_lo, s1, v78, vcc_lo
	s_delay_alu instid0(VALU_DEP_2) | instskip(SKIP_1) | instid1(VALU_DEP_2)
	v_add_co_u32 v50, vcc_lo, v48, s0
	s_wait_alu 0xfffd
	v_add_co_ci_u32_e32 v51, vcc_lo, s1, v49, vcc_lo
	s_delay_alu instid0(VALU_DEP_2) | instskip(SKIP_1) | instid1(VALU_DEP_2)
	v_add_co_u32 v52, vcc_lo, v50, s0
	s_wait_alu 0xfffd
	v_add_co_ci_u32_e32 v53, vcc_lo, s1, v51, vcc_lo
	s_delay_alu instid0(VALU_DEP_2) | instskip(SKIP_1) | instid1(VALU_DEP_2)
	v_add_co_u32 v54, vcc_lo, v52, s0
	s_wait_alu 0xfffd
	v_add_co_ci_u32_e32 v55, vcc_lo, s1, v53, vcc_lo
	s_delay_alu instid0(VALU_DEP_2) | instskip(SKIP_1) | instid1(VALU_DEP_2)
	v_add_co_u32 v56, vcc_lo, v54, s0
	s_wait_alu 0xfffd
	v_add_co_ci_u32_e32 v57, vcc_lo, s1, v55, vcc_lo
	s_delay_alu instid0(VALU_DEP_2) | instskip(SKIP_1) | instid1(VALU_DEP_2)
	v_add_co_u32 v58, vcc_lo, v56, s0
	s_wait_alu 0xfffd
	v_add_co_ci_u32_e32 v59, vcc_lo, s1, v57, vcc_lo
	s_clause 0x4
	global_store_b128 v[99:100], v[0:3], off
	global_store_b128 v[123:124], v[4:7], off
	global_store_b128 v[125:126], v[8:11], off
	global_store_b128 v[73:74], v[12:15], off
	global_store_b128 v[75:76], v[16:19], off
	global_store_b128 v[77:78], v[20:23], off
	global_store_b128 v[48:49], v[24:27], off
	global_store_b128 v[50:51], v[28:31], off
	global_store_b128 v[52:53], v[32:35], off
	global_store_b128 v[54:55], v[36:39], off
	global_store_b128 v[56:57], v[40:43], off
	global_store_b128 v[58:59], v[44:47], off
	global_load_b128 v[0:3], v127, s[8:9] offset:10560
	ds_load_b128 v[4:7], v66 offset:10560
	s_wait_loadcnt_dscnt 0x0
	v_mul_f64_e32 v[8:9], v[6:7], v[2:3]
	v_mul_f64_e32 v[2:3], v[4:5], v[2:3]
	s_delay_alu instid0(VALU_DEP_2) | instskip(NEXT) | instid1(VALU_DEP_2)
	v_fma_f64 v[4:5], v[4:5], v[0:1], v[8:9]
	v_fma_f64 v[2:3], v[0:1], v[6:7], -v[2:3]
	s_delay_alu instid0(VALU_DEP_2) | instskip(NEXT) | instid1(VALU_DEP_2)
	v_mul_f64_e32 v[0:1], s[2:3], v[4:5]
	v_mul_f64_e32 v[2:3], s[2:3], v[2:3]
	v_add_co_u32 v4, vcc_lo, v58, s0
	s_wait_alu 0xfffd
	v_add_co_ci_u32_e32 v5, vcc_lo, s1, v59, vcc_lo
	global_store_b128 v[4:5], v[0:3], off
.LBB0_23:
	s_nop 0
	s_sendmsg sendmsg(MSG_DEALLOC_VGPRS)
	s_endpgm
	.section	.rodata,"a",@progbits
	.p2align	6, 0x0
	.amdhsa_kernel bluestein_single_fwd_len715_dim1_dp_op_CI_CI
		.amdhsa_group_segment_fixed_size 34320
		.amdhsa_private_segment_fixed_size 172
		.amdhsa_kernarg_size 104
		.amdhsa_user_sgpr_count 2
		.amdhsa_user_sgpr_dispatch_ptr 0
		.amdhsa_user_sgpr_queue_ptr 0
		.amdhsa_user_sgpr_kernarg_segment_ptr 1
		.amdhsa_user_sgpr_dispatch_id 0
		.amdhsa_user_sgpr_private_segment_size 0
		.amdhsa_wavefront_size32 1
		.amdhsa_uses_dynamic_stack 0
		.amdhsa_enable_private_segment 1
		.amdhsa_system_sgpr_workgroup_id_x 1
		.amdhsa_system_sgpr_workgroup_id_y 0
		.amdhsa_system_sgpr_workgroup_id_z 0
		.amdhsa_system_sgpr_workgroup_info 0
		.amdhsa_system_vgpr_workitem_id 0
		.amdhsa_next_free_vgpr 256
		.amdhsa_next_free_sgpr 46
		.amdhsa_reserve_vcc 1
		.amdhsa_float_round_mode_32 0
		.amdhsa_float_round_mode_16_64 0
		.amdhsa_float_denorm_mode_32 3
		.amdhsa_float_denorm_mode_16_64 3
		.amdhsa_fp16_overflow 0
		.amdhsa_workgroup_processor_mode 1
		.amdhsa_memory_ordered 1
		.amdhsa_forward_progress 0
		.amdhsa_round_robin_scheduling 0
		.amdhsa_exception_fp_ieee_invalid_op 0
		.amdhsa_exception_fp_denorm_src 0
		.amdhsa_exception_fp_ieee_div_zero 0
		.amdhsa_exception_fp_ieee_overflow 0
		.amdhsa_exception_fp_ieee_underflow 0
		.amdhsa_exception_fp_ieee_inexact 0
		.amdhsa_exception_int_div_zero 0
	.end_amdhsa_kernel
	.text
.Lfunc_end0:
	.size	bluestein_single_fwd_len715_dim1_dp_op_CI_CI, .Lfunc_end0-bluestein_single_fwd_len715_dim1_dp_op_CI_CI
                                        ; -- End function
	.section	.AMDGPU.csdata,"",@progbits
; Kernel info:
; codeLenInByte = 20020
; NumSgprs: 48
; NumVgprs: 256
; ScratchSize: 172
; MemoryBound: 0
; FloatMode: 240
; IeeeMode: 1
; LDSByteSize: 34320 bytes/workgroup (compile time only)
; SGPRBlocks: 5
; VGPRBlocks: 31
; NumSGPRsForWavesPerEU: 48
; NumVGPRsForWavesPerEU: 256
; Occupancy: 5
; WaveLimiterHint : 1
; COMPUTE_PGM_RSRC2:SCRATCH_EN: 1
; COMPUTE_PGM_RSRC2:USER_SGPR: 2
; COMPUTE_PGM_RSRC2:TRAP_HANDLER: 0
; COMPUTE_PGM_RSRC2:TGID_X_EN: 1
; COMPUTE_PGM_RSRC2:TGID_Y_EN: 0
; COMPUTE_PGM_RSRC2:TGID_Z_EN: 0
; COMPUTE_PGM_RSRC2:TIDIG_COMP_CNT: 0
	.text
	.p2alignl 7, 3214868480
	.fill 96, 4, 3214868480
	.type	__hip_cuid_c987fff86ee472ac,@object ; @__hip_cuid_c987fff86ee472ac
	.section	.bss,"aw",@nobits
	.globl	__hip_cuid_c987fff86ee472ac
__hip_cuid_c987fff86ee472ac:
	.byte	0                               ; 0x0
	.size	__hip_cuid_c987fff86ee472ac, 1

	.ident	"AMD clang version 19.0.0git (https://github.com/RadeonOpenCompute/llvm-project roc-6.4.0 25133 c7fe45cf4b819c5991fe208aaa96edf142730f1d)"
	.section	".note.GNU-stack","",@progbits
	.addrsig
	.addrsig_sym __hip_cuid_c987fff86ee472ac
	.amdgpu_metadata
---
amdhsa.kernels:
  - .args:
      - .actual_access:  read_only
        .address_space:  global
        .offset:         0
        .size:           8
        .value_kind:     global_buffer
      - .actual_access:  read_only
        .address_space:  global
        .offset:         8
        .size:           8
        .value_kind:     global_buffer
      - .actual_access:  read_only
        .address_space:  global
        .offset:         16
        .size:           8
        .value_kind:     global_buffer
      - .actual_access:  read_only
        .address_space:  global
        .offset:         24
        .size:           8
        .value_kind:     global_buffer
      - .actual_access:  read_only
        .address_space:  global
        .offset:         32
        .size:           8
        .value_kind:     global_buffer
      - .offset:         40
        .size:           8
        .value_kind:     by_value
      - .address_space:  global
        .offset:         48
        .size:           8
        .value_kind:     global_buffer
      - .address_space:  global
        .offset:         56
        .size:           8
        .value_kind:     global_buffer
      - .address_space:  global
        .offset:         64
        .size:           8
        .value_kind:     global_buffer
      - .address_space:  global
        .offset:         72
        .size:           8
        .value_kind:     global_buffer
      - .offset:         80
        .size:           4
        .value_kind:     by_value
      - .address_space:  global
        .offset:         88
        .size:           8
        .value_kind:     global_buffer
      - .address_space:  global
        .offset:         96
        .size:           8
        .value_kind:     global_buffer
    .group_segment_fixed_size: 34320
    .kernarg_segment_align: 8
    .kernarg_segment_size: 104
    .language:       OpenCL C
    .language_version:
      - 2
      - 0
    .max_flat_workgroup_size: 195
    .name:           bluestein_single_fwd_len715_dim1_dp_op_CI_CI
    .private_segment_fixed_size: 172
    .sgpr_count:     48
    .sgpr_spill_count: 0
    .symbol:         bluestein_single_fwd_len715_dim1_dp_op_CI_CI.kd
    .uniform_work_group_size: 1
    .uses_dynamic_stack: false
    .vgpr_count:     256
    .vgpr_spill_count: 50
    .wavefront_size: 32
    .workgroup_processor_mode: 1
amdhsa.target:   amdgcn-amd-amdhsa--gfx1201
amdhsa.version:
  - 1
  - 2
...

	.end_amdgpu_metadata
